;; amdgpu-corpus repo=ROCm/composable_kernel kind=compiled arch=gfx950 opt=O3
	.amdgcn_target "amdgcn-amd-amdhsa--gfx950"
	.amdhsa_code_object_version 6
	.section	.text._ZN2ckL12flush_icacheEv,"axG",@progbits,_ZN2ckL12flush_icacheEv,comdat
	.globl	_ZN2ckL12flush_icacheEv         ; -- Begin function _ZN2ckL12flush_icacheEv
	.p2align	8
	.type	_ZN2ckL12flush_icacheEv,@function
_ZN2ckL12flush_icacheEv:                ; @_ZN2ckL12flush_icacheEv
; %bb.0:
	;;#ASMSTART
	s_icache_inv 
	s_nop 0 
	s_nop 0 
	;; [unrolled: 1-line block ×16, first 2 shown]
	
	;;#ASMEND
	s_endpgm
	.section	.rodata,"a",@progbits
	.p2align	6, 0x0
	.amdhsa_kernel _ZN2ckL12flush_icacheEv
		.amdhsa_group_segment_fixed_size 0
		.amdhsa_private_segment_fixed_size 0
		.amdhsa_kernarg_size 0
		.amdhsa_user_sgpr_count 0
		.amdhsa_user_sgpr_dispatch_ptr 0
		.amdhsa_user_sgpr_queue_ptr 0
		.amdhsa_user_sgpr_kernarg_segment_ptr 0
		.amdhsa_user_sgpr_dispatch_id 0
		.amdhsa_user_sgpr_kernarg_preload_length 0
		.amdhsa_user_sgpr_kernarg_preload_offset 0
		.amdhsa_user_sgpr_private_segment_size 0
		.amdhsa_uses_dynamic_stack 0
		.amdhsa_enable_private_segment 0
		.amdhsa_system_sgpr_workgroup_id_x 1
		.amdhsa_system_sgpr_workgroup_id_y 0
		.amdhsa_system_sgpr_workgroup_id_z 0
		.amdhsa_system_sgpr_workgroup_info 0
		.amdhsa_system_vgpr_workitem_id 0
		.amdhsa_next_free_vgpr 1
		.amdhsa_next_free_sgpr 0
		.amdhsa_accum_offset 4
		.amdhsa_reserve_vcc 0
		.amdhsa_float_round_mode_32 0
		.amdhsa_float_round_mode_16_64 0
		.amdhsa_float_denorm_mode_32 3
		.amdhsa_float_denorm_mode_16_64 3
		.amdhsa_dx10_clamp 1
		.amdhsa_ieee_mode 1
		.amdhsa_fp16_overflow 0
		.amdhsa_tg_split 0
		.amdhsa_exception_fp_ieee_invalid_op 0
		.amdhsa_exception_fp_denorm_src 0
		.amdhsa_exception_fp_ieee_div_zero 0
		.amdhsa_exception_fp_ieee_overflow 0
		.amdhsa_exception_fp_ieee_underflow 0
		.amdhsa_exception_fp_ieee_inexact 0
		.amdhsa_exception_int_div_zero 0
	.end_amdhsa_kernel
	.section	.text._ZN2ckL12flush_icacheEv,"axG",@progbits,_ZN2ckL12flush_icacheEv,comdat
.Lfunc_end0:
	.size	_ZN2ckL12flush_icacheEv, .Lfunc_end0-_ZN2ckL12flush_icacheEv
                                        ; -- End function
	.set _ZN2ckL12flush_icacheEv.num_vgpr, 0
	.set _ZN2ckL12flush_icacheEv.num_agpr, 0
	.set _ZN2ckL12flush_icacheEv.numbered_sgpr, 0
	.set _ZN2ckL12flush_icacheEv.num_named_barrier, 0
	.set _ZN2ckL12flush_icacheEv.private_seg_size, 0
	.set _ZN2ckL12flush_icacheEv.uses_vcc, 0
	.set _ZN2ckL12flush_icacheEv.uses_flat_scratch, 0
	.set _ZN2ckL12flush_icacheEv.has_dyn_sized_stack, 0
	.set _ZN2ckL12flush_icacheEv.has_recursion, 0
	.set _ZN2ckL12flush_icacheEv.has_indirect_call, 0
	.section	.AMDGPU.csdata,"",@progbits
; Kernel info:
; codeLenInByte = 276
; TotalNumSgprs: 6
; NumVgprs: 0
; NumAgprs: 0
; TotalNumVgprs: 0
; ScratchSize: 0
; MemoryBound: 0
; FloatMode: 240
; IeeeMode: 1
; LDSByteSize: 0 bytes/workgroup (compile time only)
; SGPRBlocks: 0
; VGPRBlocks: 0
; NumSGPRsForWavesPerEU: 6
; NumVGPRsForWavesPerEU: 1
; AccumOffset: 4
; Occupancy: 8
; WaveLimiterHint : 0
; COMPUTE_PGM_RSRC2:SCRATCH_EN: 0
; COMPUTE_PGM_RSRC2:USER_SGPR: 0
; COMPUTE_PGM_RSRC2:TRAP_HANDLER: 0
; COMPUTE_PGM_RSRC2:TGID_X_EN: 1
; COMPUTE_PGM_RSRC2:TGID_Y_EN: 0
; COMPUTE_PGM_RSRC2:TGID_Z_EN: 0
; COMPUTE_PGM_RSRC2:TIDIG_COMP_CNT: 0
; COMPUTE_PGM_RSRC3_GFX90A:ACCUM_OFFSET: 0
; COMPUTE_PGM_RSRC3_GFX90A:TG_SPLIT: 0
	.section	.text._ZN2ck35kernel_gemm_multiple_d_xdl_cshuffleINS_34GridwiseGemmMultipleD_xdl_cshuffleIDF16_DF16_DF16_ffNS_5TupleIJDF16_DF16_EEEDF16_NS_16tensor_operation12element_wise11PassThroughES6_NS5_14AddAddFastGeluELi1ELi256ELi256ELi128ELi32ELi8ELi8ELi16ELi16ELi8ELi4ENS_8SequenceIJLi4ELi64ELi1EEEENS8_IJLi1ELi0ELi2EEEESA_Li2ELi8ELi8ELb0ELi1ES9_SA_SA_Li2ELi8ELi8ELb0ELi1ELi1ELi1ENS8_IJLi1ELi32ELi1ELi8EEEELi4ELNS_13LoopSchedulerE0ELNS_15PipelineVersionE0EDF16_Lb0EEEDF16_DF16_NS2_IJPKDF16_SG_EEEDF16_S6_S6_S7_NS_16TensorDescriptorINS2_IJNS_5EmbedINS2_IJiiEEENS2_IJiNS_17integral_constantIiLi1EEEEEELb0EEENS_11PassThroughIiEESQ_NS_7UnMergeINS2_IJiNSL_IiLi8EEEEEELb0EEESQ_EEENS2_IJNS8_IJLi0EEEENS8_IJLi1EEEENS8_IJLi2EEEENS8_IJLi4EEEENS8_IJLi3EEEEEEENS2_IJNS8_IJLi1ELi2EEEES10_SZ_NS8_IJLi5ELi6EEEENS8_IJLi7EEEEEEENS8_IJLi5ELi7ELi6EEEElEES17_NS2_IJNSI_INS2_IJSO_SQ_SQ_NSR_INS2_IJiNSL_IiLi256EEEEEELb0EEENSR_INS2_IJiNSL_IiLi128EEEEEELb0EEEEEENS2_IJSW_SX_SY_S10_SZ_EEENS2_IJS12_S10_SZ_S13_NS8_IJLi7ELi8EEEEEEENS8_IJLi5ELi6ELi7ELi8EEEElEES1J_EEES1J_NS_31BlockToCTileMap_M00_N0_M01AdaptILi256ELi128ENSI_INS2_IJSO_SQ_SQ_EEENS2_IJSW_SX_SY_EEENS2_IJS12_S10_SZ_EEENS8_IJLi3ELi4EEEElEEiEELb1EEEvPKT0_PKT1_T2_PT3_T4_T5_T6_T7_T8_T9_T10_T11_,"axG",@progbits,_ZN2ck35kernel_gemm_multiple_d_xdl_cshuffleINS_34GridwiseGemmMultipleD_xdl_cshuffleIDF16_DF16_DF16_ffNS_5TupleIJDF16_DF16_EEEDF16_NS_16tensor_operation12element_wise11PassThroughES6_NS5_14AddAddFastGeluELi1ELi256ELi256ELi128ELi32ELi8ELi8ELi16ELi16ELi8ELi4ENS_8SequenceIJLi4ELi64ELi1EEEENS8_IJLi1ELi0ELi2EEEESA_Li2ELi8ELi8ELb0ELi1ES9_SA_SA_Li2ELi8ELi8ELb0ELi1ELi1ELi1ENS8_IJLi1ELi32ELi1ELi8EEEELi4ELNS_13LoopSchedulerE0ELNS_15PipelineVersionE0EDF16_Lb0EEEDF16_DF16_NS2_IJPKDF16_SG_EEEDF16_S6_S6_S7_NS_16TensorDescriptorINS2_IJNS_5EmbedINS2_IJiiEEENS2_IJiNS_17integral_constantIiLi1EEEEEELb0EEENS_11PassThroughIiEESQ_NS_7UnMergeINS2_IJiNSL_IiLi8EEEEEELb0EEESQ_EEENS2_IJNS8_IJLi0EEEENS8_IJLi1EEEENS8_IJLi2EEEENS8_IJLi4EEEENS8_IJLi3EEEEEEENS2_IJNS8_IJLi1ELi2EEEES10_SZ_NS8_IJLi5ELi6EEEENS8_IJLi7EEEEEEENS8_IJLi5ELi7ELi6EEEElEES17_NS2_IJNSI_INS2_IJSO_SQ_SQ_NSR_INS2_IJiNSL_IiLi256EEEEEELb0EEENSR_INS2_IJiNSL_IiLi128EEEEEELb0EEEEEENS2_IJSW_SX_SY_S10_SZ_EEENS2_IJS12_S10_SZ_S13_NS8_IJLi7ELi8EEEEEEENS8_IJLi5ELi6ELi7ELi8EEEElEES1J_EEES1J_NS_31BlockToCTileMap_M00_N0_M01AdaptILi256ELi128ENSI_INS2_IJSO_SQ_SQ_EEENS2_IJSW_SX_SY_EEENS2_IJS12_S10_SZ_EEENS8_IJLi3ELi4EEEElEEiEELb1EEEvPKT0_PKT1_T2_PT3_T4_T5_T6_T7_T8_T9_T10_T11_,comdat
	.protected	_ZN2ck35kernel_gemm_multiple_d_xdl_cshuffleINS_34GridwiseGemmMultipleD_xdl_cshuffleIDF16_DF16_DF16_ffNS_5TupleIJDF16_DF16_EEEDF16_NS_16tensor_operation12element_wise11PassThroughES6_NS5_14AddAddFastGeluELi1ELi256ELi256ELi128ELi32ELi8ELi8ELi16ELi16ELi8ELi4ENS_8SequenceIJLi4ELi64ELi1EEEENS8_IJLi1ELi0ELi2EEEESA_Li2ELi8ELi8ELb0ELi1ES9_SA_SA_Li2ELi8ELi8ELb0ELi1ELi1ELi1ENS8_IJLi1ELi32ELi1ELi8EEEELi4ELNS_13LoopSchedulerE0ELNS_15PipelineVersionE0EDF16_Lb0EEEDF16_DF16_NS2_IJPKDF16_SG_EEEDF16_S6_S6_S7_NS_16TensorDescriptorINS2_IJNS_5EmbedINS2_IJiiEEENS2_IJiNS_17integral_constantIiLi1EEEEEELb0EEENS_11PassThroughIiEESQ_NS_7UnMergeINS2_IJiNSL_IiLi8EEEEEELb0EEESQ_EEENS2_IJNS8_IJLi0EEEENS8_IJLi1EEEENS8_IJLi2EEEENS8_IJLi4EEEENS8_IJLi3EEEEEEENS2_IJNS8_IJLi1ELi2EEEES10_SZ_NS8_IJLi5ELi6EEEENS8_IJLi7EEEEEEENS8_IJLi5ELi7ELi6EEEElEES17_NS2_IJNSI_INS2_IJSO_SQ_SQ_NSR_INS2_IJiNSL_IiLi256EEEEEELb0EEENSR_INS2_IJiNSL_IiLi128EEEEEELb0EEEEEENS2_IJSW_SX_SY_S10_SZ_EEENS2_IJS12_S10_SZ_S13_NS8_IJLi7ELi8EEEEEEENS8_IJLi5ELi6ELi7ELi8EEEElEES1J_EEES1J_NS_31BlockToCTileMap_M00_N0_M01AdaptILi256ELi128ENSI_INS2_IJSO_SQ_SQ_EEENS2_IJSW_SX_SY_EEENS2_IJS12_S10_SZ_EEENS8_IJLi3ELi4EEEElEEiEELb1EEEvPKT0_PKT1_T2_PT3_T4_T5_T6_T7_T8_T9_T10_T11_ ; -- Begin function _ZN2ck35kernel_gemm_multiple_d_xdl_cshuffleINS_34GridwiseGemmMultipleD_xdl_cshuffleIDF16_DF16_DF16_ffNS_5TupleIJDF16_DF16_EEEDF16_NS_16tensor_operation12element_wise11PassThroughES6_NS5_14AddAddFastGeluELi1ELi256ELi256ELi128ELi32ELi8ELi8ELi16ELi16ELi8ELi4ENS_8SequenceIJLi4ELi64ELi1EEEENS8_IJLi1ELi0ELi2EEEESA_Li2ELi8ELi8ELb0ELi1ES9_SA_SA_Li2ELi8ELi8ELb0ELi1ELi1ELi1ENS8_IJLi1ELi32ELi1ELi8EEEELi4ELNS_13LoopSchedulerE0ELNS_15PipelineVersionE0EDF16_Lb0EEEDF16_DF16_NS2_IJPKDF16_SG_EEEDF16_S6_S6_S7_NS_16TensorDescriptorINS2_IJNS_5EmbedINS2_IJiiEEENS2_IJiNS_17integral_constantIiLi1EEEEEELb0EEENS_11PassThroughIiEESQ_NS_7UnMergeINS2_IJiNSL_IiLi8EEEEEELb0EEESQ_EEENS2_IJNS8_IJLi0EEEENS8_IJLi1EEEENS8_IJLi2EEEENS8_IJLi4EEEENS8_IJLi3EEEEEEENS2_IJNS8_IJLi1ELi2EEEES10_SZ_NS8_IJLi5ELi6EEEENS8_IJLi7EEEEEEENS8_IJLi5ELi7ELi6EEEElEES17_NS2_IJNSI_INS2_IJSO_SQ_SQ_NSR_INS2_IJiNSL_IiLi256EEEEEELb0EEENSR_INS2_IJiNSL_IiLi128EEEEEELb0EEEEEENS2_IJSW_SX_SY_S10_SZ_EEENS2_IJS12_S10_SZ_S13_NS8_IJLi7ELi8EEEEEEENS8_IJLi5ELi6ELi7ELi8EEEElEES1J_EEES1J_NS_31BlockToCTileMap_M00_N0_M01AdaptILi256ELi128ENSI_INS2_IJSO_SQ_SQ_EEENS2_IJSW_SX_SY_EEENS2_IJS12_S10_SZ_EEENS8_IJLi3ELi4EEEElEEiEELb1EEEvPKT0_PKT1_T2_PT3_T4_T5_T6_T7_T8_T9_T10_T11_
	.globl	_ZN2ck35kernel_gemm_multiple_d_xdl_cshuffleINS_34GridwiseGemmMultipleD_xdl_cshuffleIDF16_DF16_DF16_ffNS_5TupleIJDF16_DF16_EEEDF16_NS_16tensor_operation12element_wise11PassThroughES6_NS5_14AddAddFastGeluELi1ELi256ELi256ELi128ELi32ELi8ELi8ELi16ELi16ELi8ELi4ENS_8SequenceIJLi4ELi64ELi1EEEENS8_IJLi1ELi0ELi2EEEESA_Li2ELi8ELi8ELb0ELi1ES9_SA_SA_Li2ELi8ELi8ELb0ELi1ELi1ELi1ENS8_IJLi1ELi32ELi1ELi8EEEELi4ELNS_13LoopSchedulerE0ELNS_15PipelineVersionE0EDF16_Lb0EEEDF16_DF16_NS2_IJPKDF16_SG_EEEDF16_S6_S6_S7_NS_16TensorDescriptorINS2_IJNS_5EmbedINS2_IJiiEEENS2_IJiNS_17integral_constantIiLi1EEEEEELb0EEENS_11PassThroughIiEESQ_NS_7UnMergeINS2_IJiNSL_IiLi8EEEEEELb0EEESQ_EEENS2_IJNS8_IJLi0EEEENS8_IJLi1EEEENS8_IJLi2EEEENS8_IJLi4EEEENS8_IJLi3EEEEEEENS2_IJNS8_IJLi1ELi2EEEES10_SZ_NS8_IJLi5ELi6EEEENS8_IJLi7EEEEEEENS8_IJLi5ELi7ELi6EEEElEES17_NS2_IJNSI_INS2_IJSO_SQ_SQ_NSR_INS2_IJiNSL_IiLi256EEEEEELb0EEENSR_INS2_IJiNSL_IiLi128EEEEEELb0EEEEEENS2_IJSW_SX_SY_S10_SZ_EEENS2_IJS12_S10_SZ_S13_NS8_IJLi7ELi8EEEEEEENS8_IJLi5ELi6ELi7ELi8EEEElEES1J_EEES1J_NS_31BlockToCTileMap_M00_N0_M01AdaptILi256ELi128ENSI_INS2_IJSO_SQ_SQ_EEENS2_IJSW_SX_SY_EEENS2_IJS12_S10_SZ_EEENS8_IJLi3ELi4EEEElEEiEELb1EEEvPKT0_PKT1_T2_PT3_T4_T5_T6_T7_T8_T9_T10_T11_
	.p2align	8
	.type	_ZN2ck35kernel_gemm_multiple_d_xdl_cshuffleINS_34GridwiseGemmMultipleD_xdl_cshuffleIDF16_DF16_DF16_ffNS_5TupleIJDF16_DF16_EEEDF16_NS_16tensor_operation12element_wise11PassThroughES6_NS5_14AddAddFastGeluELi1ELi256ELi256ELi128ELi32ELi8ELi8ELi16ELi16ELi8ELi4ENS_8SequenceIJLi4ELi64ELi1EEEENS8_IJLi1ELi0ELi2EEEESA_Li2ELi8ELi8ELb0ELi1ES9_SA_SA_Li2ELi8ELi8ELb0ELi1ELi1ELi1ENS8_IJLi1ELi32ELi1ELi8EEEELi4ELNS_13LoopSchedulerE0ELNS_15PipelineVersionE0EDF16_Lb0EEEDF16_DF16_NS2_IJPKDF16_SG_EEEDF16_S6_S6_S7_NS_16TensorDescriptorINS2_IJNS_5EmbedINS2_IJiiEEENS2_IJiNS_17integral_constantIiLi1EEEEEELb0EEENS_11PassThroughIiEESQ_NS_7UnMergeINS2_IJiNSL_IiLi8EEEEEELb0EEESQ_EEENS2_IJNS8_IJLi0EEEENS8_IJLi1EEEENS8_IJLi2EEEENS8_IJLi4EEEENS8_IJLi3EEEEEEENS2_IJNS8_IJLi1ELi2EEEES10_SZ_NS8_IJLi5ELi6EEEENS8_IJLi7EEEEEEENS8_IJLi5ELi7ELi6EEEElEES17_NS2_IJNSI_INS2_IJSO_SQ_SQ_NSR_INS2_IJiNSL_IiLi256EEEEEELb0EEENSR_INS2_IJiNSL_IiLi128EEEEEELb0EEEEEENS2_IJSW_SX_SY_S10_SZ_EEENS2_IJS12_S10_SZ_S13_NS8_IJLi7ELi8EEEEEEENS8_IJLi5ELi6ELi7ELi8EEEElEES1J_EEES1J_NS_31BlockToCTileMap_M00_N0_M01AdaptILi256ELi128ENSI_INS2_IJSO_SQ_SQ_EEENS2_IJSW_SX_SY_EEENS2_IJS12_S10_SZ_EEENS8_IJLi3ELi4EEEElEEiEELb1EEEvPKT0_PKT1_T2_PT3_T4_T5_T6_T7_T8_T9_T10_T11_,@function
_ZN2ck35kernel_gemm_multiple_d_xdl_cshuffleINS_34GridwiseGemmMultipleD_xdl_cshuffleIDF16_DF16_DF16_ffNS_5TupleIJDF16_DF16_EEEDF16_NS_16tensor_operation12element_wise11PassThroughES6_NS5_14AddAddFastGeluELi1ELi256ELi256ELi128ELi32ELi8ELi8ELi16ELi16ELi8ELi4ENS_8SequenceIJLi4ELi64ELi1EEEENS8_IJLi1ELi0ELi2EEEESA_Li2ELi8ELi8ELb0ELi1ES9_SA_SA_Li2ELi8ELi8ELb0ELi1ELi1ELi1ENS8_IJLi1ELi32ELi1ELi8EEEELi4ELNS_13LoopSchedulerE0ELNS_15PipelineVersionE0EDF16_Lb0EEEDF16_DF16_NS2_IJPKDF16_SG_EEEDF16_S6_S6_S7_NS_16TensorDescriptorINS2_IJNS_5EmbedINS2_IJiiEEENS2_IJiNS_17integral_constantIiLi1EEEEEELb0EEENS_11PassThroughIiEESQ_NS_7UnMergeINS2_IJiNSL_IiLi8EEEEEELb0EEESQ_EEENS2_IJNS8_IJLi0EEEENS8_IJLi1EEEENS8_IJLi2EEEENS8_IJLi4EEEENS8_IJLi3EEEEEEENS2_IJNS8_IJLi1ELi2EEEES10_SZ_NS8_IJLi5ELi6EEEENS8_IJLi7EEEEEEENS8_IJLi5ELi7ELi6EEEElEES17_NS2_IJNSI_INS2_IJSO_SQ_SQ_NSR_INS2_IJiNSL_IiLi256EEEEEELb0EEENSR_INS2_IJiNSL_IiLi128EEEEEELb0EEEEEENS2_IJSW_SX_SY_S10_SZ_EEENS2_IJS12_S10_SZ_S13_NS8_IJLi7ELi8EEEEEEENS8_IJLi5ELi6ELi7ELi8EEEElEES1J_EEES1J_NS_31BlockToCTileMap_M00_N0_M01AdaptILi256ELi128ENSI_INS2_IJSO_SQ_SQ_EEENS2_IJSW_SX_SY_EEENS2_IJS12_S10_SZ_EEENS8_IJLi3ELi4EEEElEEiEELb1EEEvPKT0_PKT1_T2_PT3_T4_T5_T6_T7_T8_T9_T10_T11_: ; @_ZN2ck35kernel_gemm_multiple_d_xdl_cshuffleINS_34GridwiseGemmMultipleD_xdl_cshuffleIDF16_DF16_DF16_ffNS_5TupleIJDF16_DF16_EEEDF16_NS_16tensor_operation12element_wise11PassThroughES6_NS5_14AddAddFastGeluELi1ELi256ELi256ELi128ELi32ELi8ELi8ELi16ELi16ELi8ELi4ENS_8SequenceIJLi4ELi64ELi1EEEENS8_IJLi1ELi0ELi2EEEESA_Li2ELi8ELi8ELb0ELi1ES9_SA_SA_Li2ELi8ELi8ELb0ELi1ELi1ELi1ENS8_IJLi1ELi32ELi1ELi8EEEELi4ELNS_13LoopSchedulerE0ELNS_15PipelineVersionE0EDF16_Lb0EEEDF16_DF16_NS2_IJPKDF16_SG_EEEDF16_S6_S6_S7_NS_16TensorDescriptorINS2_IJNS_5EmbedINS2_IJiiEEENS2_IJiNS_17integral_constantIiLi1EEEEEELb0EEENS_11PassThroughIiEESQ_NS_7UnMergeINS2_IJiNSL_IiLi8EEEEEELb0EEESQ_EEENS2_IJNS8_IJLi0EEEENS8_IJLi1EEEENS8_IJLi2EEEENS8_IJLi4EEEENS8_IJLi3EEEEEEENS2_IJNS8_IJLi1ELi2EEEES10_SZ_NS8_IJLi5ELi6EEEENS8_IJLi7EEEEEEENS8_IJLi5ELi7ELi6EEEElEES17_NS2_IJNSI_INS2_IJSO_SQ_SQ_NSR_INS2_IJiNSL_IiLi256EEEEEELb0EEENSR_INS2_IJiNSL_IiLi128EEEEEELb0EEEEEENS2_IJSW_SX_SY_S10_SZ_EEENS2_IJS12_S10_SZ_S13_NS8_IJLi7ELi8EEEEEEENS8_IJLi5ELi6ELi7ELi8EEEElEES1J_EEES1J_NS_31BlockToCTileMap_M00_N0_M01AdaptILi256ELi128ENSI_INS2_IJSO_SQ_SQ_EEENS2_IJSW_SX_SY_EEENS2_IJS12_S10_SZ_EEENS8_IJLi3ELi4EEEElEEiEELb1EEEvPKT0_PKT1_T2_PT3_T4_T5_T6_T7_T8_T9_T10_T11_
; %bb.0:
	s_load_dwordx4 s[16:19], s[0:1], 0x158
	s_load_dword s3, s[0:1], 0x168
	v_and_b32_e32 v26, 0xfc, v0
	v_and_b32_e32 v27, 3, v0
	v_lshrrev_b32_e32 v3, 1, v0
	s_waitcnt lgkmcnt(0)
	s_add_i32 s4, s19, 0x7f
	s_add_i32 s5, s18, 0xff
	s_ashr_i32 s6, s5, 31
	s_ashr_i32 s7, s4, 31
	s_lshr_b32 s6, s6, 24
	s_lshr_b32 s7, s7, 25
	s_add_i32 s5, s5, s6
	s_add_i32 s4, s4, s7
	s_ashr_i32 s6, s5, 8
	s_ashr_i32 s12, s4, 7
	s_mul_i32 s4, s12, s6
	s_abs_i32 s4, s4
	v_cvt_f32_u32_e32 v1, s4
	s_sub_i32 s8, 0, s4
	s_ashr_i32 s7, s2, 31
	s_abs_i32 s2, s2
	v_rcp_iflag_f32_e32 v1, v1
	v_and_b32_e32 v30, 0x7e, v3
	s_mov_b32 s23, 0x20000
	s_mov_b32 s27, s23
	v_mul_f32_e32 v1, 0x4f7ffffe, v1
	v_cvt_u32_f32_e32 v1, v1
                                        ; kill: killed $sgpr0_sgpr1
	v_mul_u32_u24_e32 v34, 0x1010, v27
	v_mul_u32_u24_e32 v35, 0x810, v27
	v_lshlrev_b32_e32 v58, 4, v27
	v_readfirstlane_b32 s9, v1
	s_mul_i32 s8, s8, s9
	s_mul_hi_u32 s8, s9, s8
	s_add_i32 s9, s9, s8
	s_mul_hi_u32 s8, s2, s9
	s_mul_i32 s8, s8, s4
	s_sub_i32 s2, s2, s8
	s_sub_i32 s8, s2, s4
	s_cmp_ge_u32 s2, s4
	s_cselect_b32 s2, s8, s2
	s_sub_i32 s8, s2, s4
	s_cmp_ge_u32 s2, s4
	s_cselect_b32 s2, s8, s2
	s_abs_i32 s4, s12
	v_cvt_f32_u32_e32 v1, s4
	s_sub_i32 s8, 0, s4
	s_xor_b32 s2, s2, s7
	s_sub_i32 s2, s2, s7
	v_rcp_iflag_f32_e32 v1, v1
	s_abs_i32 s9, s2
	s_xor_b32 s7, s2, s12
	s_ashr_i32 s7, s7, 31
	v_mul_f32_e32 v1, 0x4f7ffffe, v1
	v_cvt_u32_f32_e32 v1, v1
	v_and_b32_e32 v33, 0x80, v0
	v_lshlrev_b32_e32 v174, 2, v0
	v_readfirstlane_b32 s10, v1
	s_mul_i32 s8, s8, s10
	s_mul_hi_u32 s8, s10, s8
	s_add_i32 s10, s10, s8
	s_mul_hi_u32 s8, s9, s10
	s_mul_i32 s10, s8, s4
	s_sub_i32 s9, s9, s10
	s_add_i32 s11, s8, 1
	s_sub_i32 s10, s9, s4
	s_cmp_ge_u32 s9, s4
	s_cselect_b32 s8, s11, s8
	s_cselect_b32 s9, s10, s9
	s_add_i32 s10, s8, 1
	s_cmp_ge_u32 s9, s4
	s_cselect_b32 s4, s10, s8
	s_abs_i32 s8, s3
	v_cvt_f32_u32_e32 v1, s8
	s_xor_b32 s4, s4, s7
	s_sub_i32 s10, 0, s8
	s_sub_i32 s13, s4, s7
	v_rcp_iflag_f32_e32 v1, v1
	s_abs_i32 s9, s6
	s_ashr_i32 s5, s5, 31
	s_mul_i32 s4, s13, s12
	v_mul_f32_e32 v1, 0x4f7ffffe, v1
	v_cvt_u32_f32_e32 v1, v1
	s_nop 0
	v_readfirstlane_b32 s7, v1
	s_mul_i32 s10, s10, s7
	s_mul_hi_u32 s10, s7, s10
	s_add_i32 s7, s7, s10
	s_mul_hi_u32 s10, s9, s7
	s_mul_i32 s10, s10, s8
	s_sub_i32 s9, s9, s10
	s_sub_i32 s10, s9, s8
	s_cmp_ge_u32 s9, s8
	s_cselect_b32 s9, s10, s9
	s_sub_i32 s10, s9, s8
	s_cmp_ge_u32 s9, s8
	s_cselect_b32 s9, s10, s9
	s_xor_b32 s9, s9, s5
	s_sub_i32 s5, s9, s5
	s_sub_i32 s6, s6, s5
	s_cmp_lt_i32 s13, s6
	s_cselect_b32 s3, s3, s5
	s_sub_i32 s2, s2, s4
	s_abs_i32 s4, s13
	s_mul_hi_u32 s5, s4, s7
	s_mul_i32 s5, s5, s8
	s_sub_i32 s4, s4, s5
	s_ashr_i32 s14, s13, 31
	s_sub_i32 s5, s4, s8
	s_cmp_ge_u32 s4, s8
	s_cselect_b32 s4, s5, s4
	s_sub_i32 s5, s4, s8
	s_cmp_ge_u32 s4, s8
	s_cselect_b32 s15, s5, s4
	s_abs_i32 s17, s3
	v_cvt_f32_u32_e32 v1, s17
	s_xor_b32 s15, s15, s14
	s_sub_i32 s18, 0, s17
	s_sub_i32 s14, s15, s14
	v_rcp_iflag_f32_e32 v1, v1
	s_mul_i32 s12, s14, s12
	s_add_i32 s12, s12, s2
	s_abs_i32 s15, s12
	v_mul_f32_e32 v1, 0x4f7ffffe, v1
	v_cvt_u32_f32_e32 v1, v1
	s_xor_b32 s2, s12, s3
	s_ashr_i32 s2, s2, 31
	s_load_dwordx8 s[4:11], s[0:1], 0x0
	v_readfirstlane_b32 s19, v1
	s_mul_i32 s18, s18, s19
	s_mul_hi_u32 s18, s19, s18
	s_add_i32 s19, s19, s18
	s_mul_hi_u32 s18, s15, s19
	s_mul_i32 s19, s18, s17
	s_sub_i32 s15, s15, s19
	s_add_i32 s19, s18, 1
	s_sub_i32 s20, s15, s17
	s_cmp_ge_u32 s15, s17
	s_cselect_b32 s18, s19, s18
	s_cselect_b32 s15, s20, s15
	s_add_i32 s19, s18, 1
	s_cmp_ge_u32 s15, s17
	s_cselect_b32 s15, s19, s18
	s_xor_b32 s15, s15, s2
	s_sub_i32 s28, s15, s2
	s_mul_i32 s2, s28, s3
	s_sub_i32 s2, s12, s2
	s_sub_i32 s29, s13, s14
	s_add_i32 s29, s29, s2
	v_lshl_or_b32 v28, s29, 8, v26
	v_lshlrev_b32_e32 v1, 3, v27
	s_load_dword s30, s[0:1], 0x38
	s_load_dword s31, s[0:1], 0x48
	;; [unrolled: 1-line block ×6, first 2 shown]
	s_load_dwordx2 s[12:13], s[0:1], 0x20
	s_waitcnt lgkmcnt(0)
	v_mul_lo_u32 v29, v28, s30
	v_add_u32_e32 v2, v29, v1
	v_lshl_or_b32 v3, s28, 7, v30
	v_mul_lo_u32 v31, v3, s33
	s_lshl_b32 s22, s2, 1
	s_and_b32 s21, s5, 0xffff
	s_mov_b32 s20, s4
	v_lshlrev_b32_e32 v10, 1, v2
	v_add_u32_e32 v11, s30, v2
	v_add_u32_e32 v1, v31, v1
	v_lshlrev_b32_e32 v12, 1, v11
	buffer_load_dwordx4 v[2:5], v10, s[20:23], 0 offen
	buffer_load_dwordx4 v[6:9], v12, s[20:23], 0 offen
	v_add_u32_e32 v10, s30, v11
	v_lshlrev_b32_e32 v18, 1, v10
	v_add_lshl_u32 v19, v10, s30, 1
	s_lshl_b32 s26, s3, 1
	s_and_b32 s25, s7, 0xffff
	s_mov_b32 s24, s6
	v_lshlrev_b32_e32 v32, 1, v1
	buffer_load_dwordx4 v[10:13], v18, s[20:23], 0 offen
	buffer_load_dwordx4 v[14:17], v19, s[20:23], 0 offen
	v_add_lshl_u32 v1, v1, s33, 1
	buffer_load_dwordx4 v[18:21], v32, s[24:27], 0 offen
	buffer_load_dwordx4 v[22:25], v1, s[24:27], 0 offen
	s_movk_i32 s2, 0x1010
	s_load_dwordx2 s[18:19], s[0:1], 0xd8
	s_load_dword s20, s[0:1], 0xe8
	s_load_dwordx2 s[14:15], s[0:1], 0x118
	v_lshlrev_b32_e32 v26, 4, v26
	v_lshl_add_u32 v59, v31, 1, 64
	v_add_u32_e32 v31, s33, v31
	s_movk_i32 s5, 0x810
	s_waitcnt lgkmcnt(0)
	s_load_dword s19, s[0:1], 0x128
	v_mad_u32_u24 v38, v27, s2, v26
	v_lshlrev_b32_e32 v30, 4, v30
	s_ashr_i32 s1, s31, 31
	v_lshl_add_u32 v60, v31, 1, 64
	v_or_b32_e32 v31, 3, v28
	v_mad_u32_u24 v27, v27, s5, v30
	s_mov_b32 s0, s6
	s_lshr_b32 s6, s1, 30
	v_and_b32_e32 v1, 15, v0
	s_add_i32 s31, s31, s6
	s_movk_i32 s7, 0x100
	v_bfe_u32 v32, v0, 4, 2
	v_lshlrev_b32_e32 v36, 4, v1
	s_ashr_i32 s6, s31, 2
	v_mul_u32_u24_e32 v37, 0x1010, v32
	v_mul_u32_u24_e32 v32, 0x810, v32
	v_lshl_or_b32 v33, v33, 1, v36
	v_and_or_b32 v36, v174, s7, v36
	s_max_i32 s6, s6, 2
	s_mov_b32 s3, s23
	s_mov_b32 s5, s21
	;; [unrolled: 1-line block ×4, first 2 shown]
	v_lshl_add_u32 v61, v29, 1, 64
	s_add_i32 s15, s6, -1
	v_add_u32_e32 v175, v33, v37
	v_add_u32_e32 v78, v36, v32
	;; [unrolled: 1-line block ×4, first 2 shown]
	s_mov_b32 s6, s22
	s_mov_b32 s7, s23
	s_waitcnt vmcnt(5)
	ds_write_b128 v38, v[2:5]
	s_waitcnt vmcnt(4)
	ds_write_b128 v38, v[6:9] offset:16
	s_waitcnt vmcnt(3)
	ds_write_b128 v38, v[10:13] offset:32
	;; [unrolled: 2-line block ×5, first 2 shown]
	v_mul_lo_u32 v2, s30, v31
	v_lshl_add_u32 v79, v2, 1, 64
	v_or_b32_e32 v2, 2, v28
	v_mul_lo_u32 v2, s30, v2
	v_lshl_add_u32 v80, v2, 1, 64
	v_add_u32_e32 v2, s30, v29
	v_mov_b32_e32 v14, 0
	v_lshl_add_u32 v81, v2, 1, 64
	v_mov_b32_e32 v15, v14
	v_mov_b32_e32 v16, v14
	v_mov_b32_e32 v17, v14
	v_mov_b32_e32 v10, v14
	v_mov_b32_e32 v11, v14
	v_mov_b32_e32 v12, v14
	v_mov_b32_e32 v13, v14
	v_mov_b32_e32 v6, v14
	v_mov_b32_e32 v7, v14
	v_mov_b32_e32 v8, v14
	v_mov_b32_e32 v9, v14
	v_mov_b32_e32 v2, v14
	v_mov_b32_e32 v3, v14
	v_mov_b32_e32 v4, v14
	v_mov_b32_e32 v5, v14
	v_mov_b32_e32 v18, v14
	v_mov_b32_e32 v19, v14
	v_mov_b32_e32 v20, v14
	v_mov_b32_e32 v21, v14
	v_mov_b32_e32 v26, v14
	v_mov_b32_e32 v27, v14
	v_mov_b32_e32 v28, v14
	v_mov_b32_e32 v29, v14
	v_mov_b32_e32 v38, v14
	v_mov_b32_e32 v39, v14
	v_mov_b32_e32 v40, v14
	v_mov_b32_e32 v41, v14
	v_mov_b32_e32 v46, v14
	v_mov_b32_e32 v47, v14
	v_mov_b32_e32 v48, v14
	v_mov_b32_e32 v49, v14
	v_mov_b32_e32 v70, v14
	v_mov_b32_e32 v71, v14
	v_mov_b32_e32 v72, v14
	v_mov_b32_e32 v73, v14
	v_mov_b32_e32 v66, v14
	v_mov_b32_e32 v67, v14
	v_mov_b32_e32 v68, v14
	v_mov_b32_e32 v69, v14
	v_mov_b32_e32 v62, v14
	v_mov_b32_e32 v63, v14
	v_mov_b32_e32 v64, v14
	v_mov_b32_e32 v65, v14
	v_mov_b32_e32 v54, v14
	v_mov_b32_e32 v55, v14
	v_mov_b32_e32 v56, v14
	v_mov_b32_e32 v57, v14
	v_mov_b32_e32 v74, v14
	v_mov_b32_e32 v75, v14
	v_mov_b32_e32 v76, v14
	v_mov_b32_e32 v77, v14
	v_mov_b32_e32 v82, v14
	v_mov_b32_e32 v83, v14
	v_mov_b32_e32 v84, v14
	v_mov_b32_e32 v85, v14
	v_mov_b32_e32 v86, v14
	v_mov_b32_e32 v87, v14
	v_mov_b32_e32 v88, v14
	v_mov_b32_e32 v89, v14
	v_mov_b32_e32 v90, v14
	v_mov_b32_e32 v91, v14
	v_mov_b32_e32 v92, v14
	v_mov_b32_e32 v93, v14
	v_mov_b32_e32 v110, v14
	v_mov_b32_e32 v111, v14
	v_mov_b32_e32 v112, v14
	v_mov_b32_e32 v113, v14
	v_mov_b32_e32 v106, v14
	v_mov_b32_e32 v107, v14
	v_mov_b32_e32 v108, v14
	v_mov_b32_e32 v109, v14
	v_mov_b32_e32 v102, v14
	v_mov_b32_e32 v103, v14
	v_mov_b32_e32 v104, v14
	v_mov_b32_e32 v105, v14
	v_mov_b32_e32 v94, v14
	v_mov_b32_e32 v95, v14
	v_mov_b32_e32 v96, v14
	v_mov_b32_e32 v97, v14
	v_mov_b32_e32 v114, v14
	v_mov_b32_e32 v115, v14
	v_mov_b32_e32 v116, v14
	v_mov_b32_e32 v117, v14
	v_mov_b32_e32 v122, v14
	v_mov_b32_e32 v123, v14
	v_mov_b32_e32 v124, v14
	v_mov_b32_e32 v125, v14
	v_mov_b32_e32 v126, v14
	v_mov_b32_e32 v127, v14
	v_mov_b32_e32 v128, v14
	v_mov_b32_e32 v129, v14
	v_mov_b32_e32 v130, v14
	v_mov_b32_e32 v131, v14
	v_mov_b32_e32 v132, v14
	v_mov_b32_e32 v133, v14
	v_mov_b32_e32 v150, v14
	v_mov_b32_e32 v151, v14
	v_mov_b32_e32 v152, v14
	v_mov_b32_e32 v153, v14
	v_mov_b32_e32 v146, v14
	v_mov_b32_e32 v147, v14
	v_mov_b32_e32 v148, v14
	v_mov_b32_e32 v149, v14
	v_mov_b32_e32 v142, v14
	v_mov_b32_e32 v143, v14
	v_mov_b32_e32 v144, v14
	v_mov_b32_e32 v145, v14
	v_mov_b32_e32 v134, v14
	v_mov_b32_e32 v135, v14
	v_mov_b32_e32 v136, v14
	v_mov_b32_e32 v137, v14
	v_mov_b32_e32 v158, v14
	v_mov_b32_e32 v159, v14
	v_mov_b32_e32 v160, v14
	v_mov_b32_e32 v161, v14
	v_mov_b32_e32 v162, v14
	v_mov_b32_e32 v163, v14
	v_mov_b32_e32 v164, v14
	v_mov_b32_e32 v165, v14
	v_mov_b32_e32 v166, v14
	v_mov_b32_e32 v167, v14
	v_mov_b32_e32 v168, v14
	v_mov_b32_e32 v169, v14
	v_mov_b32_e32 v30, v14
	v_mov_b32_e32 v31, v14
	v_mov_b32_e32 v32, v14
	v_mov_b32_e32 v33, v14
.LBB1_1:                                ; =>This Inner Loop Header: Depth=1
	v_add_u32_e32 v22, v58, v61
	v_add_u32_e32 v34, v58, v81
	;; [unrolled: 1-line block ×4, first 2 shown]
	buffer_load_dwordx4 v[22:25], v22, s[4:7], 0 offen
	s_nop 0
	buffer_load_dwordx4 v[34:37], v34, s[4:7], 0 offen
	s_nop 0
	;; [unrolled: 2-line block ×3, first 2 shown]
	buffer_load_dwordx4 v[50:53], v50, s[4:7], 0 offen
	s_waitcnt lgkmcnt(0)
	s_barrier
	ds_read_b128 v[118:121], v175
	ds_read_b128 v[138:141], v78 offset:16432
	ds_read_b128 v[154:157], v78 offset:16944
	;; [unrolled: 1-line block ×5, first 2 shown]
	s_waitcnt lgkmcnt(4)
	v_mfma_f32_16x16x32_f16 v[30:33], v[118:121], v[138:141], v[30:33]
	v_add_u32_e32 v100, v58, v59
	v_add_u32_e32 v101, v58, v60
	s_add_i32 s15, s15, -1
	s_waitcnt lgkmcnt(3)
	v_mfma_f32_16x16x32_f16 v[166:169], v[118:121], v[154:157], v[166:169]
	v_add_u32_e32 v59, 64, v59
	v_add_u32_e32 v60, 64, v60
	;; [unrolled: 1-line block ×3, first 2 shown]
	s_waitcnt lgkmcnt(1)
	v_mfma_f32_16x16x32_f16 v[162:165], v[118:121], v[176:179], v[162:165]
	v_add_u32_e32 v79, 64, v79
	v_add_u32_e32 v80, 64, v80
	;; [unrolled: 1-line block ×3, first 2 shown]
	s_waitcnt lgkmcnt(0)
	v_mfma_f32_16x16x32_f16 v[158:161], v[118:121], v[180:183], v[158:161]
	s_cmp_lg_u32 s15, 0
	v_mfma_f32_16x16x32_f16 v[134:137], v[170:173], v[138:141], v[134:137]
	v_mfma_f32_16x16x32_f16 v[142:145], v[170:173], v[154:157], v[142:145]
	;; [unrolled: 1-line block ×4, first 2 shown]
	ds_read_b128 v[118:121], v175 offset:1024
	ds_read_b128 v[170:173], v175 offset:1536
	s_waitcnt lgkmcnt(1)
	v_mfma_f32_16x16x32_f16 v[130:133], v[118:121], v[138:141], v[130:133]
	v_mfma_f32_16x16x32_f16 v[126:129], v[118:121], v[154:157], v[126:129]
	v_mfma_f32_16x16x32_f16 v[122:125], v[118:121], v[176:179], v[122:125]
	v_mfma_f32_16x16x32_f16 v[114:117], v[118:121], v[180:183], v[114:117]
	s_waitcnt lgkmcnt(0)
	v_mfma_f32_16x16x32_f16 v[94:97], v[170:173], v[138:141], v[94:97]
	v_mfma_f32_16x16x32_f16 v[102:105], v[170:173], v[154:157], v[102:105]
	;; [unrolled: 1-line block ×4, first 2 shown]
	ds_read_b128 v[118:121], v175 offset:2048
	ds_read_b128 v[170:173], v175 offset:2560
	s_waitcnt lgkmcnt(1)
	v_mfma_f32_16x16x32_f16 v[90:93], v[118:121], v[138:141], v[90:93]
	v_mfma_f32_16x16x32_f16 v[86:89], v[118:121], v[154:157], v[86:89]
	;; [unrolled: 1-line block ×4, first 2 shown]
	s_waitcnt lgkmcnt(0)
	v_mfma_f32_16x16x32_f16 v[54:57], v[170:173], v[138:141], v[54:57]
	v_mfma_f32_16x16x32_f16 v[62:65], v[170:173], v[154:157], v[62:65]
	;; [unrolled: 1-line block ×4, first 2 shown]
	ds_read_b128 v[118:121], v175 offset:3072
	ds_read_b128 v[170:173], v175 offset:3584
	buffer_load_dwordx4 v[184:187], v100, s[0:3], 0 offen
	s_waitcnt lgkmcnt(1)
	v_mfma_f32_16x16x32_f16 v[46:49], v[118:121], v[138:141], v[46:49]
	v_mfma_f32_16x16x32_f16 v[38:41], v[118:121], v[154:157], v[38:41]
	v_mfma_f32_16x16x32_f16 v[26:29], v[118:121], v[176:179], v[26:29]
	v_mfma_f32_16x16x32_f16 v[18:21], v[118:121], v[180:183], v[18:21]
	buffer_load_dwordx4 v[118:121], v101, s[0:3], 0 offen
	s_waitcnt lgkmcnt(0)
	s_barrier
	v_mfma_f32_16x16x32_f16 v[2:5], v[170:173], v[138:141], v[2:5]
	s_waitcnt vmcnt(5)
	ds_write_b128 v98, v[22:25]
	s_waitcnt vmcnt(4)
	ds_write_b128 v98, v[34:37] offset:16
	s_waitcnt vmcnt(3)
	ds_write_b128 v98, v[42:45] offset:32
	;; [unrolled: 2-line block ×5, first 2 shown]
	v_mfma_f32_16x16x32_f16 v[6:9], v[170:173], v[154:157], v[6:9]
	v_mfma_f32_16x16x32_f16 v[10:13], v[170:173], v[176:179], v[10:13]
	;; [unrolled: 1-line block ×3, first 2 shown]
	s_cbranch_scc1 .LBB1_1
; %bb.2:
	s_waitcnt lgkmcnt(0)
	s_barrier
	ds_read_b128 v[170:173], v175
	ds_read_b128 v[22:25], v78 offset:16432
	ds_read_b128 v[34:37], v78 offset:16944
	;; [unrolled: 1-line block ×5, first 2 shown]
	s_waitcnt lgkmcnt(4)
	v_mfma_f32_16x16x32_f16 v[178:181], v[170:173], v[22:25], v[30:33]
	ds_read_b128 v[138:141], v175 offset:1024
	ds_read_b128 v[118:121], v175 offset:1536
	;; [unrolled: 1-line block ×6, first 2 shown]
	v_lshrrev_b32_e32 v175, 2, v0
	v_lshrrev_b32_e32 v183, 3, v0
	v_and_b32_e32 v188, 28, v174
	v_and_b32_e32 v175, 12, v175
	v_lshl_or_b32 v182, s28, 7, v188
	v_lshl_or_b32 v189, s29, 8, v183
	v_and_or_b32 v184, v183, 16, v175
	v_mad_u64_u32 v[174:175], s[0:1], v189, s17, v[182:183]
	v_mad_u64_u32 v[176:177], s[0:1], v189, s20, v[182:183]
	v_and_b32_e32 v0, 64, v0
	v_lshlrev_b32_e32 v175, 7, v184
	v_lshlrev_b32_e32 v1, 2, v1
	v_or3_b32 v177, v0, v175, v1
	s_lshl_b32 s2, s18, 1
	s_and_b32 s1, s9, 0xffff
	s_mov_b32 s3, 0x20000
	s_mov_b32 s0, s8
	v_lshlrev_b32_e32 v190, 1, v174
	s_waitcnt lgkmcnt(0)
	s_barrier
	ds_write2_b32 v177, v178, v179 offset1:32
	ds_write2_b32 v177, v180, v181 offset0:64 offset1:96
	s_waitcnt lgkmcnt(0)
	s_barrier
	buffer_load_dwordx2 v[184:185], v190, s[0:3], 0 offen
	s_lshl_b32 s6, s14, 1
	s_and_b32 s5, s11, 0xffff
	s_mov_b32 s4, s10
	s_mov_b32 s7, s3
	v_lshlrev_b32_e32 v191, 1, v176
	buffer_load_dwordx2 v[186:187], v191, s[4:7], 0 offen
	v_lshlrev_b32_e32 v178, 2, v188
	v_mad_u64_u32 v[0:1], s[14:15], v189, s19, v[182:183]
	v_lshl_or_b32 v1, v183, 7, v178
	ds_read_b128 v[178:181], v1
	s_mov_b32 s10, 0xbfcc4231
	s_mov_b32 s11, 0x3fb8aa3b
	;; [unrolled: 1-line block ×4, first 2 shown]
	v_mov_b32_e32 v175, 0x7f800000
	v_mfma_f32_16x16x32_f16 v[166:169], v[170:173], v[34:37], v[166:169]
	s_lshl_b32 s14, s16, 1
	s_and_b32 s13, s13, 0xffff
	s_mov_b32 s15, s3
	v_mfma_f32_16x16x32_f16 v[162:165], v[170:173], v[42:45], v[162:165]
	s_lshl_b32 s18, s17, 5
	s_lshl_b32 s17, s20, 5
	s_lshl_b32 s16, s19, 5
	v_mfma_f32_16x16x32_f16 v[158:161], v[170:173], v[50:53], v[158:161]
	s_waitcnt vmcnt(1)
	v_cvt_f32_f16_e32 v182, v184
	v_cvt_f32_f16_sdwa v183, v184 dst_sel:DWORD dst_unused:UNUSED_PAD src0_sel:WORD_1
	v_cvt_f32_f16_e32 v184, v185
	v_cvt_f32_f16_sdwa v185, v185 dst_sel:DWORD dst_unused:UNUSED_PAD src0_sel:WORD_1
	v_mfma_f32_16x16x32_f16 v[150:153], v[154:157], v[50:53], v[150:153]
	s_waitcnt lgkmcnt(0)
	v_pk_add_f32 v[178:179], v[178:179], v[182:183]
	s_waitcnt vmcnt(0)
	v_cvt_f32_f16_e32 v188, v186
	v_cvt_f32_f16_sdwa v189, v186 dst_sel:DWORD dst_unused:UNUSED_PAD src0_sel:WORD_1
	v_cvt_f32_f16_e32 v186, v187
	v_cvt_f32_f16_sdwa v187, v187 dst_sel:DWORD dst_unused:UNUSED_PAD src0_sel:WORD_1
	v_pk_add_f32 v[180:181], v[180:181], v[184:185]
	v_pk_add_f32 v[178:179], v[178:179], v[188:189]
	v_mfma_f32_16x16x32_f16 v[146:149], v[154:157], v[42:45], v[146:149]
	v_mul_f32_e32 v182, 0x3d92220c, v178
	v_mul_f32_e32 v183, 0x3d92220c, v179
	v_fma_f32 v182, -v178, v182, s10
	v_fma_f32 v183, -v179, v183, s10
	v_mul_f32_e32 v182, v178, v182
	v_mul_f32_e32 v183, v179, v183
	;; [unrolled: 1-line block ×3, first 2 shown]
	v_pk_add_f32 v[180:181], v[180:181], v[186:187]
	v_mul_f32_e32 v186, 0x3fb8aa3b, v183
	v_fma_f32 v188, v182, s11, -v185
	v_rndne_f32_e32 v189, v185
	v_fma_f32 v192, v183, s11, -v186
	v_rndne_f32_e32 v193, v186
	v_fmac_f32_e32 v188, 0x32a5705f, v182
	v_sub_f32_e32 v185, v185, v189
	v_fmac_f32_e32 v192, 0x32a5705f, v183
	v_sub_f32_e32 v186, v186, v193
	v_add_f32_e32 v185, v185, v188
	v_cvt_i32_f32_e32 v189, v189
	v_add_f32_e32 v186, v186, v192
	v_exp_f32_e32 v185, v185
	v_cvt_i32_f32_e32 v193, v193
	v_exp_f32_e32 v186, v186
	v_cmp_ngt_f32_e32 vcc, s8, v182
	v_ldexp_f32 v185, v185, v189
	v_mul_f32_e32 v184, 0x3d92220c, v180
	v_ldexp_f32 v186, v186, v193
	v_cndmask_b32_e32 v185, 0, v185, vcc
	v_cmp_ngt_f32_e32 vcc, s8, v183
	v_fma_f32 v184, -v180, v184, s10
	v_mul_f32_e32 v184, v180, v184
	v_cndmask_b32_e32 v186, 0, v186, vcc
	v_cmp_nlt_f32_e32 vcc, s9, v182
	v_mul_f32_e32 v187, 0x3fb8aa3b, v184
	v_fma_f32 v194, v184, s11, -v187
	v_cndmask_b32_e32 v182, v175, v185, vcc
	v_cmp_nlt_f32_e32 vcc, s9, v183
	v_rndne_f32_e32 v188, v187
	v_fmac_f32_e32 v194, 0x32a5705f, v184
	v_cndmask_b32_e32 v183, v175, v186, vcc
	v_pk_add_f32 v[182:183], v[182:183], 1.0 op_sel_hi:[1,0]
	v_cmp_ngt_f32_e32 vcc, s8, v184
	v_frexp_mant_f32_e32 v185, v182
	v_frexp_mant_f32_e32 v186, v183
	v_rcp_f32_e32 v185, v185
	v_rcp_f32_e32 v186, v186
	v_frexp_exp_i32_f32_e32 v182, v182
	v_frexp_exp_i32_f32_e32 v183, v183
	v_sub_u32_e32 v182, 0, v182
	v_sub_u32_e32 v183, 0, v183
	v_ldexp_f32 v182, v185, v182
	v_sub_f32_e32 v185, v187, v188
	v_add_f32_e32 v185, v185, v194
	v_ldexp_f32 v183, v186, v183
	v_exp_f32_e32 v185, v185
	v_cvt_i32_f32_e32 v187, v188
	v_pk_mul_f32 v[178:179], v[178:179], v[182:183]
	v_mul_f32_e32 v182, 0x3d92220c, v181
	v_fma_f32 v182, -v181, v182, s10
	v_mul_f32_e32 v183, v181, v182
	v_mul_f32_e32 v182, 0x3fb8aa3b, v183
	v_cvt_pk_f16_f32 v178, v178, v179
	v_ldexp_f32 v179, v185, v187
	v_fma_f32 v185, v183, s11, -v182
	v_rndne_f32_e32 v186, v182
	v_fmac_f32_e32 v185, 0x32a5705f, v183
	v_sub_f32_e32 v182, v182, v186
	v_add_f32_e32 v182, v182, v185
	v_exp_f32_e32 v185, v182
	v_cvt_i32_f32_e32 v186, v186
	v_cndmask_b32_e32 v179, 0, v179, vcc
	v_cmp_nlt_f32_e32 vcc, s9, v184
	v_mfma_f32_16x16x32_f16 v[142:145], v[154:157], v[34:37], v[142:145]
	s_nop 0
	v_cndmask_b32_e32 v182, v175, v179, vcc
	v_ldexp_f32 v179, v185, v186
	v_cmp_ngt_f32_e32 vcc, s8, v183
	v_lshlrev_b32_e32 v186, 1, v0
	v_mfma_f32_16x16x32_f16 v[134:137], v[154:157], v[22:25], v[134:137]
	v_cndmask_b32_e32 v179, 0, v179, vcc
	v_cmp_nlt_f32_e32 vcc, s9, v183
	v_mfma_f32_16x16x32_f16 v[122:125], v[138:141], v[42:45], v[122:125]
	s_nop 0
	v_cndmask_b32_e32 v183, v175, v179, vcc
	v_pk_add_f32 v[182:183], v[182:183], 1.0 op_sel_hi:[1,0]
	s_nop 0
	v_frexp_mant_f32_e32 v179, v182
	v_rcp_f32_e32 v179, v179
	v_frexp_mant_f32_e32 v184, v183
	v_frexp_exp_i32_f32_e32 v182, v182
	v_rcp_f32_e32 v184, v184
	v_sub_u32_e32 v182, 0, v182
	v_ldexp_f32 v182, v179, v182
	v_frexp_exp_i32_f32_e32 v179, v183
	v_sub_u32_e32 v179, 0, v179
	v_ldexp_f32 v183, v184, v179
	v_pk_mul_f32 v[180:181], v[180:181], v[182:183]
	v_mfma_f32_16x16x32_f16 v[114:117], v[138:141], v[50:53], v[114:117]
	v_cvt_pk_f16_f32 v179, v180, v181
	buffer_store_dwordx2 v[178:179], v186, s[12:15], 0 offen
	s_waitcnt lgkmcnt(0)
	s_barrier
	ds_write2_b32 v177, v166, v167 offset1:32
	ds_write2_b32 v177, v168, v169 offset0:64 offset1:96
	s_waitcnt lgkmcnt(0)
	s_barrier
	buffer_load_dwordx2 v[178:179], v190, s[0:3], 0 offen offset:64
	buffer_load_dwordx2 v[180:181], v191, s[4:7], 0 offen offset:64
	ds_read_b128 v[166:169], v1
	v_mfma_f32_16x16x32_f16 v[110:113], v[118:121], v[50:53], v[110:113]
	s_waitcnt vmcnt(1)
	v_cvt_f32_f16_e32 v182, v178
	v_cvt_f32_f16_sdwa v183, v178 dst_sel:DWORD dst_unused:UNUSED_PAD src0_sel:WORD_1
	s_waitcnt vmcnt(0)
	v_cvt_f32_f16_e32 v184, v180
	v_cvt_f32_f16_sdwa v185, v180 dst_sel:DWORD dst_unused:UNUSED_PAD src0_sel:WORD_1
	v_cvt_f32_f16_e32 v178, v179
	s_waitcnt lgkmcnt(0)
	v_pk_add_f32 v[166:167], v[166:167], v[182:183]
	v_cvt_f32_f16_sdwa v179, v179 dst_sel:DWORD dst_unused:UNUSED_PAD src0_sel:WORD_1
	v_pk_add_f32 v[166:167], v[166:167], v[184:185]
	v_cvt_f32_f16_e32 v180, v181
	v_mul_f32_e32 v182, 0x3d92220c, v166
	v_mul_f32_e32 v183, 0x3d92220c, v167
	v_fma_f32 v182, -v166, v182, s10
	v_fma_f32 v183, -v167, v183, s10
	v_mul_f32_e32 v182, v166, v182
	v_mul_f32_e32 v183, v167, v183
	;; [unrolled: 1-line block ×4, first 2 shown]
	v_fma_f32 v187, v182, s11, -v184
	v_rndne_f32_e32 v188, v184
	v_fma_f32 v189, v183, s11, -v185
	v_rndne_f32_e32 v192, v185
	v_fmac_f32_e32 v187, 0x32a5705f, v182
	v_sub_f32_e32 v184, v184, v188
	v_fmac_f32_e32 v189, 0x32a5705f, v183
	v_sub_f32_e32 v185, v185, v192
	v_add_f32_e32 v184, v184, v187
	v_cvt_i32_f32_e32 v188, v188
	v_add_f32_e32 v185, v185, v189
	v_exp_f32_e32 v184, v184
	v_cvt_i32_f32_e32 v192, v192
	v_exp_f32_e32 v185, v185
	v_pk_add_f32 v[168:169], v[168:169], v[178:179]
	v_ldexp_f32 v178, v184, v188
	v_cmp_ngt_f32_e32 vcc, s8, v182
	v_ldexp_f32 v179, v185, v192
	v_cvt_f32_f16_sdwa v181, v181 dst_sel:DWORD dst_unused:UNUSED_PAD src0_sel:WORD_1
	v_cndmask_b32_e32 v178, 0, v178, vcc
	v_cmp_ngt_f32_e32 vcc, s8, v183
	v_mfma_f32_16x16x32_f16 v[106:109], v[118:121], v[42:45], v[106:109]
	v_add_f32_e64 v168, v168, v180
	v_add_f32_e64 v169, v169, v181
	v_cndmask_b32_e32 v179, 0, v179, vcc
	v_cmp_nlt_f32_e32 vcc, s9, v182
	v_mul_f32_e32 v180, 0x3d92220c, v168
	v_fma_f32 v180, -v168, v180, s10
	v_cndmask_b32_e32 v178, v175, v178, vcc
	v_cmp_nlt_f32_e32 vcc, s9, v183
	v_mul_f32_e32 v180, v168, v180
	v_mul_f32_e32 v181, 0x3fb8aa3b, v180
	v_cndmask_b32_e32 v179, v175, v179, vcc
	v_pk_add_f32 v[178:179], v[178:179], 1.0 op_sel_hi:[1,0]
	v_rndne_f32_e32 v184, v181
	v_frexp_mant_f32_e32 v182, v178
	v_rcp_f32_e32 v182, v182
	v_frexp_mant_f32_e32 v183, v179
	v_frexp_exp_i32_f32_e32 v178, v178
	v_rcp_f32_e32 v183, v183
	v_sub_u32_e32 v178, 0, v178
	v_frexp_exp_i32_f32_e32 v179, v179
	v_ldexp_f32 v178, v182, v178
	v_fma_f32 v182, v180, s11, -v181
	v_sub_u32_e32 v179, 0, v179
	v_fmac_f32_e32 v182, 0x32a5705f, v180
	v_sub_f32_e32 v181, v181, v184
	v_add_f32_e32 v181, v181, v182
	v_ldexp_f32 v179, v183, v179
	v_exp_f32_e32 v181, v181
	v_cvt_i32_f32_e32 v182, v184
	v_pk_mul_f32 v[166:167], v[166:167], v[178:179]
	v_mul_f32_e32 v178, 0x3d92220c, v169
	v_fma_f32 v178, -v169, v178, s10
	v_mul_f32_e32 v179, v169, v178
	v_mul_f32_e32 v178, 0x3fb8aa3b, v179
	v_cvt_pk_f16_f32 v166, v166, v167
	v_ldexp_f32 v167, v181, v182
	v_fma_f32 v181, v179, s11, -v178
	v_rndne_f32_e32 v182, v178
	v_fmac_f32_e32 v181, 0x32a5705f, v179
	v_sub_f32_e32 v178, v178, v182
	v_add_f32_e32 v178, v178, v181
	v_exp_f32_e32 v181, v178
	v_cvt_i32_f32_e32 v182, v182
	v_cmp_ngt_f32_e32 vcc, s8, v180
	v_mfma_f32_16x16x32_f16 v[102:105], v[118:121], v[34:37], v[102:105]
	s_nop 0
	v_cndmask_b32_e32 v167, 0, v167, vcc
	v_cmp_nlt_f32_e32 vcc, s9, v180
	v_mfma_f32_16x16x32_f16 v[94:97], v[118:121], v[22:25], v[94:97]
	s_nop 0
	v_cndmask_b32_e32 v178, v175, v167, vcc
	v_ldexp_f32 v167, v181, v182
	v_cmp_ngt_f32_e32 vcc, s8, v179
	v_mfma_f32_16x16x32_f16 v[82:85], v[98:101], v[42:45], v[82:85]
	s_nop 0
	v_cndmask_b32_e32 v167, 0, v167, vcc
	v_cmp_nlt_f32_e32 vcc, s9, v179
	v_mfma_f32_16x16x32_f16 v[74:77], v[98:101], v[50:53], v[74:77]
	s_nop 0
	v_cndmask_b32_e32 v179, v175, v167, vcc
	v_pk_add_f32 v[178:179], v[178:179], 1.0 op_sel_hi:[1,0]
	v_mfma_f32_16x16x32_f16 v[70:73], v[78:81], v[50:53], v[70:73]
	v_frexp_mant_f32_e32 v167, v178
	v_rcp_f32_e32 v167, v167
	v_frexp_mant_f32_e32 v180, v179
	v_frexp_exp_i32_f32_e32 v178, v178
	v_rcp_f32_e32 v180, v180
	v_sub_u32_e32 v178, 0, v178
	v_ldexp_f32 v178, v167, v178
	v_frexp_exp_i32_f32_e32 v167, v179
	v_sub_u32_e32 v167, 0, v167
	v_ldexp_f32 v179, v180, v167
	v_pk_mul_f32 v[168:169], v[168:169], v[178:179]
	v_mfma_f32_16x16x32_f16 v[66:69], v[78:81], v[42:45], v[66:69]
	v_cvt_pk_f16_f32 v167, v168, v169
	buffer_store_dwordx2 v[166:167], v186, s[12:15], 0 offen offset:64
	s_waitcnt lgkmcnt(0)
	s_barrier
	ds_write2_b32 v177, v162, v163 offset1:32
	ds_write2_b32 v177, v164, v165 offset0:64 offset1:96
	s_waitcnt lgkmcnt(0)
	s_barrier
	buffer_load_dwordx2 v[166:167], v190, s[0:3], 0 offen offset:128
	buffer_load_dwordx2 v[168:169], v191, s[4:7], 0 offen offset:128
	ds_read_b128 v[162:165], v1
	v_mfma_f32_16x16x32_f16 v[62:65], v[78:81], v[34:37], v[62:65]
	s_waitcnt vmcnt(1)
	v_cvt_f32_f16_e32 v178, v166
	v_cvt_f32_f16_sdwa v179, v166 dst_sel:DWORD dst_unused:UNUSED_PAD src0_sel:WORD_1
	s_waitcnt vmcnt(0)
	v_cvt_f32_f16_e32 v180, v168
	v_cvt_f32_f16_sdwa v181, v168 dst_sel:DWORD dst_unused:UNUSED_PAD src0_sel:WORD_1
	v_cvt_f32_f16_e32 v166, v167
	s_waitcnt lgkmcnt(0)
	v_pk_add_f32 v[162:163], v[162:163], v[178:179]
	v_cvt_f32_f16_sdwa v167, v167 dst_sel:DWORD dst_unused:UNUSED_PAD src0_sel:WORD_1
	v_pk_add_f32 v[162:163], v[162:163], v[180:181]
	v_mfma_f32_16x16x32_f16 v[54:57], v[78:81], v[22:25], v[54:57]
	v_mul_f32_e32 v168, 0x3d92220c, v162
	v_mul_f32_e32 v170, 0x3d92220c, v163
	v_fma_f32 v168, -v162, v168, s10
	v_fma_f32 v170, -v163, v170, s10
	v_mul_f32_e32 v171, v162, v168
	v_mul_f32_e32 v172, v163, v170
	;; [unrolled: 1-line block ×4, first 2 shown]
	v_fma_f32 v173, v171, s11, -v168
	v_rndne_f32_e32 v178, v168
	v_fma_f32 v179, v172, s11, -v170
	v_rndne_f32_e32 v180, v170
	v_fmac_f32_e32 v173, 0x32a5705f, v171
	v_sub_f32_e32 v168, v168, v178
	v_fmac_f32_e32 v179, 0x32a5705f, v172
	v_sub_f32_e32 v170, v170, v180
	v_add_f32_e32 v168, v168, v173
	v_cvt_i32_f32_e32 v178, v178
	v_add_f32_e32 v170, v170, v179
	v_exp_f32_e32 v173, v168
	v_cvt_i32_f32_e32 v180, v180
	v_exp_f32_e32 v170, v170
	v_cmp_ngt_f32_e32 vcc, s8, v171
	v_ldexp_f32 v173, v173, v178
	v_cvt_f32_f16_e32 v168, v169
	v_ldexp_f32 v170, v170, v180
	v_cndmask_b32_e32 v173, 0, v173, vcc
	v_cmp_ngt_f32_e32 vcc, s8, v172
	v_cvt_f32_f16_sdwa v169, v169 dst_sel:DWORD dst_unused:UNUSED_PAD src0_sel:WORD_1
	v_pk_add_f32 v[164:165], v[164:165], v[166:167]
	v_cndmask_b32_e32 v178, 0, v170, vcc
	v_cmp_nlt_f32_e32 vcc, s9, v171
	v_pk_add_f32 v[164:165], v[164:165], v[168:169]
	v_mfma_f32_16x16x32_f16 v[38:41], v[58:61], v[34:37], v[38:41]
	v_cndmask_b32_e32 v170, v175, v173, vcc
	v_cmp_nlt_f32_e32 vcc, s9, v172
	v_mul_f32_e32 v166, 0x3d92220c, v164
	v_fma_f32 v166, -v164, v166, s10
	v_cndmask_b32_e32 v171, v175, v178, vcc
	v_pk_add_f32 v[170:171], v[170:171], 1.0 op_sel_hi:[1,0]
	v_mul_f32_e32 v166, v164, v166
	v_frexp_mant_f32_e32 v172, v170
	v_rcp_f32_e32 v172, v172
	v_frexp_exp_i32_f32_e32 v170, v170
	v_mul_f32_e32 v167, 0x3fb8aa3b, v166
	v_frexp_mant_f32_e32 v173, v171
	v_sub_u32_e32 v170, 0, v170
	v_fma_f32 v168, v166, s11, -v167
	v_rndne_f32_e32 v169, v167
	v_ldexp_f32 v170, v172, v170
	v_rcp_f32_e32 v172, v173
	v_fmac_f32_e32 v168, 0x32a5705f, v166
	v_sub_f32_e32 v167, v167, v169
	v_add_f32_e32 v167, v167, v168
	v_frexp_exp_i32_f32_e32 v171, v171
	v_exp_f32_e32 v167, v167
	v_cvt_i32_f32_e32 v168, v169
	v_sub_u32_e32 v171, 0, v171
	v_ldexp_f32 v171, v172, v171
	v_pk_mul_f32 v[162:163], v[162:163], v[170:171]
	v_cmp_ngt_f32_e32 vcc, s8, v166
	v_cvt_pk_f16_f32 v162, v162, v163
	v_ldexp_f32 v163, v167, v168
	v_mul_f32_e32 v167, 0x3d92220c, v165
	v_fma_f32 v167, -v165, v167, s10
	v_mul_f32_e32 v167, v165, v167
	v_mul_f32_e32 v168, 0x3fb8aa3b, v167
	v_fma_f32 v169, v167, s11, -v168
	v_rndne_f32_e32 v170, v168
	v_fmac_f32_e32 v169, 0x32a5705f, v167
	v_sub_f32_e32 v168, v168, v170
	v_add_f32_e32 v168, v168, v169
	v_exp_f32_e32 v168, v168
	v_cvt_i32_f32_e32 v169, v170
	v_cndmask_b32_e32 v163, 0, v163, vcc
	v_cmp_nlt_f32_e32 vcc, s9, v166
	v_add_u32_e32 v170, 0x60, v174
	v_add_u32_e32 v171, 0x60, v176
	v_cndmask_b32_e32 v166, v175, v163, vcc
	v_ldexp_f32 v163, v168, v169
	v_cmp_ngt_f32_e32 vcc, s8, v167
	v_mfma_f32_16x16x32_f16 v[26:29], v[58:61], v[42:45], v[26:29]
	s_nop 0
	v_cndmask_b32_e32 v163, 0, v163, vcc
	v_cmp_nlt_f32_e32 vcc, s9, v167
	v_mfma_f32_16x16x32_f16 v[18:21], v[58:61], v[50:53], v[18:21]
	s_nop 0
	v_cndmask_b32_e32 v167, v175, v163, vcc
	v_pk_add_f32 v[166:167], v[166:167], 1.0 op_sel_hi:[1,0]
	v_mfma_f32_16x16x32_f16 v[14:17], v[30:33], v[50:53], v[14:17]
	v_frexp_mant_f32_e32 v163, v166
	v_rcp_f32_e32 v163, v163
	v_frexp_mant_f32_e32 v168, v167
	v_frexp_exp_i32_f32_e32 v166, v166
	v_rcp_f32_e32 v168, v168
	v_sub_u32_e32 v166, 0, v166
	v_ldexp_f32 v166, v163, v166
	v_frexp_exp_i32_f32_e32 v163, v167
	v_sub_u32_e32 v163, 0, v163
	v_ldexp_f32 v167, v168, v163
	v_pk_mul_f32 v[164:165], v[164:165], v[166:167]
	v_mfma_f32_16x16x32_f16 v[10:13], v[30:33], v[42:45], v[10:13]
	v_cvt_pk_f16_f32 v163, v164, v165
	buffer_store_dwordx2 v[162:163], v186, s[12:15], 0 offen offset:128
	s_waitcnt lgkmcnt(0)
	s_barrier
	ds_write2_b32 v177, v158, v159 offset1:32
	ds_write2_b32 v177, v160, v161 offset0:64 offset1:96
	v_lshlrev_b32_e32 v158, 1, v170
	s_waitcnt lgkmcnt(0)
	s_barrier
	buffer_load_dwordx2 v[162:163], v158, s[0:3], 0 offen
	v_lshlrev_b32_e32 v158, 1, v171
	buffer_load_dwordx2 v[164:165], v158, s[4:7], 0 offen
	ds_read_b128 v[158:161], v1
	v_mfma_f32_16x16x32_f16 v[6:9], v[30:33], v[34:37], v[6:9]
	s_waitcnt vmcnt(1)
	v_cvt_f32_f16_e32 v166, v162
	v_cvt_f32_f16_sdwa v167, v162 dst_sel:DWORD dst_unused:UNUSED_PAD src0_sel:WORD_1
	s_waitcnt vmcnt(0)
	v_cvt_f32_f16_e32 v168, v164
	v_cvt_f32_f16_sdwa v169, v164 dst_sel:DWORD dst_unused:UNUSED_PAD src0_sel:WORD_1
	v_mfma_f32_16x16x32_f16 v[2:5], v[30:33], v[22:25], v[2:5]
	s_waitcnt lgkmcnt(0)
	v_pk_add_f32 v[158:159], v[158:159], v[166:167]
	s_nop 0
	v_pk_add_f32 v[158:159], v[158:159], v[168:169]
	s_nop 0
	v_mul_f32_e32 v162, 0x3d92220c, v158
	v_fma_f32 v162, -v158, v162, s10
	v_mul_f32_e32 v164, 0x3d92220c, v159
	v_mul_f32_e32 v162, v158, v162
	v_fma_f32 v164, -v159, v164, s10
	v_mul_f32_e32 v166, 0x3fb8aa3b, v162
	v_mul_f32_e32 v164, v159, v164
	v_fma_f32 v168, v162, s11, -v166
	v_rndne_f32_e32 v169, v166
	v_mul_f32_e32 v167, 0x3fb8aa3b, v164
	v_fmac_f32_e32 v168, 0x32a5705f, v162
	v_sub_f32_e32 v166, v166, v169
	v_fma_f32 v172, v164, s11, -v167
	v_rndne_f32_e32 v173, v167
	v_add_f32_e32 v166, v166, v168
	v_cvt_i32_f32_e32 v169, v169
	v_fmac_f32_e32 v172, 0x32a5705f, v164
	v_sub_f32_e32 v167, v167, v173
	v_exp_f32_e32 v166, v166
	v_add_f32_e32 v167, v167, v172
	v_cvt_i32_f32_e32 v173, v173
	v_exp_f32_e32 v167, v167
	v_ldexp_f32 v166, v166, v169
	v_cmp_ngt_f32_e32 vcc, s8, v162
	v_add_u32_e32 v168, 0x60, v0
	v_ldexp_f32 v167, v167, v173
	v_cndmask_b32_e32 v166, 0, v166, vcc
	v_cmp_nlt_f32_e32 vcc, s9, v162
	s_nop 1
	v_cndmask_b32_e32 v166, v175, v166, vcc
	v_cmp_ngt_f32_e32 vcc, s8, v164
	s_nop 1
	v_cndmask_b32_e32 v162, 0, v167, vcc
	v_cmp_nlt_f32_e32 vcc, s9, v164
	s_nop 1
	v_cndmask_b32_e32 v167, v175, v162, vcc
	v_pk_add_f32 v[166:167], v[166:167], 1.0 op_sel_hi:[1,0]
	s_nop 0
	v_frexp_mant_f32_e32 v162, v166
	v_rcp_f32_e32 v162, v162
	v_frexp_exp_i32_f32_e32 v164, v166
	v_sub_u32_e32 v164, 0, v164
	v_frexp_mant_f32_e32 v169, v167
	v_frexp_exp_i32_f32_e32 v172, v167
	v_cvt_f32_f16_e32 v166, v163
	v_cvt_f32_f16_sdwa v167, v163 dst_sel:DWORD dst_unused:UNUSED_PAD src0_sel:WORD_1
	v_ldexp_f32 v162, v162, v164
	v_cvt_f32_f16_e32 v164, v165
	v_cvt_f32_f16_sdwa v165, v165 dst_sel:DWORD dst_unused:UNUSED_PAD src0_sel:WORD_1
	v_pk_add_f32 v[160:161], v[160:161], v[166:167]
	v_rcp_f32_e32 v169, v169
	v_sub_u32_e32 v163, 0, v172
	v_pk_add_f32 v[160:161], v[160:161], v[164:165]
	v_ldexp_f32 v163, v169, v163
	v_mul_f32_e32 v164, 0x3d92220c, v160
	v_fma_f32 v164, -v160, v164, s10
	v_mul_f32_e32 v164, v160, v164
	v_mul_f32_e32 v165, 0x3fb8aa3b, v164
	v_fma_f32 v166, v164, s11, -v165
	v_rndne_f32_e32 v167, v165
	v_fmac_f32_e32 v166, 0x32a5705f, v164
	v_sub_f32_e32 v165, v165, v167
	v_add_f32_e32 v165, v165, v166
	v_exp_f32_e32 v165, v165
	v_cvt_i32_f32_e32 v166, v167
	v_pk_mul_f32 v[158:159], v[158:159], v[162:163]
	v_mul_f32_e32 v162, 0x3d92220c, v161
	v_fma_f32 v162, -v161, v162, s10
	v_mul_f32_e32 v163, v161, v162
	v_mul_f32_e32 v162, 0x3fb8aa3b, v163
	v_cvt_pk_f16_f32 v158, v158, v159
	v_ldexp_f32 v159, v165, v166
	v_fma_f32 v165, v163, s11, -v162
	v_rndne_f32_e32 v166, v162
	v_fmac_f32_e32 v165, 0x32a5705f, v163
	v_sub_f32_e32 v162, v162, v166
	v_add_f32_e32 v162, v162, v165
	v_exp_f32_e32 v165, v162
	v_cvt_i32_f32_e32 v166, v166
	v_cmp_ngt_f32_e32 vcc, s8, v164
	v_add_lshl_u32 v167, v171, s17, 1
	s_nop 0
	v_cndmask_b32_e32 v159, 0, v159, vcc
	v_cmp_nlt_f32_e32 vcc, s9, v164
	s_nop 1
	v_cndmask_b32_e32 v162, v175, v159, vcc
	v_ldexp_f32 v159, v165, v166
	v_cmp_ngt_f32_e32 vcc, s8, v163
	v_add_lshl_u32 v166, v170, s18, 1
	s_nop 0
	v_cndmask_b32_e32 v159, 0, v159, vcc
	v_cmp_nlt_f32_e32 vcc, s9, v163
	s_nop 1
	v_cndmask_b32_e32 v163, v175, v159, vcc
	v_pk_add_f32 v[162:163], v[162:163], 1.0 op_sel_hi:[1,0]
	s_nop 0
	v_frexp_mant_f32_e32 v159, v162
	v_rcp_f32_e32 v159, v159
	v_frexp_mant_f32_e32 v164, v163
	v_frexp_exp_i32_f32_e32 v162, v162
	v_rcp_f32_e32 v164, v164
	v_sub_u32_e32 v162, 0, v162
	v_ldexp_f32 v162, v159, v162
	v_frexp_exp_i32_f32_e32 v159, v163
	v_sub_u32_e32 v159, 0, v159
	v_ldexp_f32 v163, v164, v159
	v_pk_mul_f32 v[160:161], v[160:161], v[162:163]
	s_nop 0
	v_cvt_pk_f16_f32 v159, v160, v161
	v_lshlrev_b32_e32 v160, 1, v168
	buffer_store_dwordx2 v[158:159], v160, s[12:15], 0 offen
	s_waitcnt lgkmcnt(0)
	s_barrier
	ds_write2_b32 v177, v150, v151 offset1:32
	ds_write2_b32 v177, v152, v153 offset0:64 offset1:96
	s_waitcnt lgkmcnt(0)
	s_barrier
	buffer_load_dwordx2 v[158:159], v166, s[0:3], 0 offen
	buffer_load_dwordx2 v[160:161], v167, s[4:7], 0 offen
	ds_read_b128 v[150:153], v1
	s_waitcnt vmcnt(1)
	v_cvt_f32_f16_e32 v162, v158
	v_cvt_f32_f16_sdwa v163, v158 dst_sel:DWORD dst_unused:UNUSED_PAD src0_sel:WORD_1
	s_waitcnt vmcnt(0)
	v_cvt_f32_f16_e32 v164, v160
	v_cvt_f32_f16_sdwa v165, v160 dst_sel:DWORD dst_unused:UNUSED_PAD src0_sel:WORD_1
	s_waitcnt lgkmcnt(0)
	v_pk_add_f32 v[150:151], v[150:151], v[162:163]
	s_nop 0
	v_pk_add_f32 v[150:151], v[150:151], v[164:165]
	s_nop 0
	v_mul_f32_e32 v158, 0x3d92220c, v150
	v_fma_f32 v158, -v150, v158, s10
	v_mul_f32_e32 v158, v150, v158
	v_mul_f32_e32 v162, 0x3fb8aa3b, v158
	v_fma_f32 v163, v158, s11, -v162
	v_rndne_f32_e32 v164, v162
	v_fmac_f32_e32 v163, 0x32a5705f, v158
	v_sub_f32_e32 v162, v162, v164
	v_add_f32_e32 v162, v162, v163
	v_mul_f32_e32 v160, 0x3d92220c, v151
	v_cvt_i32_f32_e32 v164, v164
	v_exp_f32_e32 v162, v162
	v_fma_f32 v160, -v151, v160, s10
	v_mul_f32_e32 v160, v151, v160
	v_mul_f32_e32 v163, 0x3fb8aa3b, v160
	v_ldexp_f32 v162, v162, v164
	v_fma_f32 v164, v160, s11, -v163
	v_rndne_f32_e32 v165, v163
	v_fmac_f32_e32 v164, 0x32a5705f, v160
	v_sub_f32_e32 v163, v163, v165
	v_add_f32_e32 v163, v163, v164
	v_exp_f32_e32 v163, v163
	v_cvt_i32_f32_e32 v164, v165
	v_cmp_ngt_f32_e32 vcc, s8, v158
	s_nop 1
	v_cndmask_b32_e32 v162, 0, v162, vcc
	v_cmp_nlt_f32_e32 vcc, s9, v158
	v_ldexp_f32 v158, v163, v164
	s_nop 0
	v_cndmask_b32_e32 v162, v175, v162, vcc
	v_cmp_ngt_f32_e32 vcc, s8, v160
	s_nop 1
	v_cndmask_b32_e32 v158, 0, v158, vcc
	v_cmp_nlt_f32_e32 vcc, s9, v160
	s_nop 1
	v_cndmask_b32_e32 v163, v175, v158, vcc
	v_pk_add_f32 v[162:163], v[162:163], 1.0 op_sel_hi:[1,0]
	s_nop 0
	v_frexp_mant_f32_e32 v158, v162
	v_rcp_f32_e32 v158, v158
	v_frexp_exp_i32_f32_e32 v160, v162
	v_sub_u32_e32 v160, 0, v160
	v_frexp_mant_f32_e32 v164, v163
	v_frexp_exp_i32_f32_e32 v165, v163
	v_cvt_f32_f16_e32 v162, v159
	v_cvt_f32_f16_sdwa v163, v159 dst_sel:DWORD dst_unused:UNUSED_PAD src0_sel:WORD_1
	v_ldexp_f32 v158, v158, v160
	v_cvt_f32_f16_e32 v160, v161
	v_cvt_f32_f16_sdwa v161, v161 dst_sel:DWORD dst_unused:UNUSED_PAD src0_sel:WORD_1
	v_pk_add_f32 v[152:153], v[152:153], v[162:163]
	v_rcp_f32_e32 v164, v164
	v_sub_u32_e32 v159, 0, v165
	v_pk_add_f32 v[152:153], v[152:153], v[160:161]
	v_ldexp_f32 v159, v164, v159
	v_mul_f32_e32 v160, 0x3d92220c, v152
	v_fma_f32 v160, -v152, v160, s10
	v_mul_f32_e32 v160, v152, v160
	v_mul_f32_e32 v161, 0x3fb8aa3b, v160
	v_fma_f32 v162, v160, s11, -v161
	v_rndne_f32_e32 v163, v161
	v_fmac_f32_e32 v162, 0x32a5705f, v160
	v_sub_f32_e32 v161, v161, v163
	v_add_f32_e32 v161, v161, v162
	v_exp_f32_e32 v161, v161
	v_cvt_i32_f32_e32 v162, v163
	v_pk_mul_f32 v[150:151], v[150:151], v[158:159]
	v_mul_f32_e32 v158, 0x3d92220c, v153
	v_fma_f32 v158, -v153, v158, s10
	v_mul_f32_e32 v159, v153, v158
	v_mul_f32_e32 v158, 0x3fb8aa3b, v159
	v_cvt_pk_f16_f32 v150, v150, v151
	v_ldexp_f32 v151, v161, v162
	v_fma_f32 v161, v159, s11, -v158
	v_rndne_f32_e32 v162, v158
	v_fmac_f32_e32 v161, 0x32a5705f, v159
	v_sub_f32_e32 v158, v158, v162
	v_add_f32_e32 v158, v158, v161
	v_exp_f32_e32 v161, v158
	v_cvt_i32_f32_e32 v162, v162
	v_cmp_ngt_f32_e32 vcc, s8, v160
	s_nop 1
	v_cndmask_b32_e32 v151, 0, v151, vcc
	v_cmp_nlt_f32_e32 vcc, s9, v160
	s_nop 1
	v_cndmask_b32_e32 v158, v175, v151, vcc
	v_ldexp_f32 v151, v161, v162
	v_cmp_ngt_f32_e32 vcc, s8, v159
	v_add_lshl_u32 v162, v168, s16, 1
	s_nop 0
	v_cndmask_b32_e32 v151, 0, v151, vcc
	v_cmp_nlt_f32_e32 vcc, s9, v159
	s_nop 1
	v_cndmask_b32_e32 v159, v175, v151, vcc
	v_pk_add_f32 v[158:159], v[158:159], 1.0 op_sel_hi:[1,0]
	s_nop 0
	v_frexp_mant_f32_e32 v151, v158
	v_rcp_f32_e32 v151, v151
	v_frexp_mant_f32_e32 v160, v159
	v_frexp_exp_i32_f32_e32 v158, v158
	v_rcp_f32_e32 v160, v160
	v_sub_u32_e32 v158, 0, v158
	v_ldexp_f32 v158, v151, v158
	v_frexp_exp_i32_f32_e32 v151, v159
	v_sub_u32_e32 v151, 0, v151
	v_ldexp_f32 v159, v160, v151
	v_pk_mul_f32 v[152:153], v[152:153], v[158:159]
	s_nop 0
	v_cvt_pk_f16_f32 v151, v152, v153
	buffer_store_dwordx2 v[150:151], v162, s[12:15], 0 offen
	s_waitcnt lgkmcnt(0)
	s_barrier
	ds_write2_b32 v177, v146, v147 offset1:32
	ds_write2_b32 v177, v148, v149 offset0:64 offset1:96
	v_subrev_u32_e32 v146, 64, v166
	s_waitcnt lgkmcnt(0)
	s_barrier
	buffer_load_dwordx2 v[150:151], v146, s[0:3], 0 offen
	v_subrev_u32_e32 v146, 64, v167
	buffer_load_dwordx2 v[152:153], v146, s[4:7], 0 offen
	ds_read_b128 v[146:149], v1
	s_waitcnt vmcnt(1)
	v_cvt_f32_f16_e32 v158, v150
	v_cvt_f32_f16_sdwa v159, v150 dst_sel:DWORD dst_unused:UNUSED_PAD src0_sel:WORD_1
	s_waitcnt vmcnt(0)
	v_cvt_f32_f16_e32 v160, v152
	v_cvt_f32_f16_sdwa v161, v152 dst_sel:DWORD dst_unused:UNUSED_PAD src0_sel:WORD_1
	s_waitcnt lgkmcnt(0)
	v_pk_add_f32 v[146:147], v[146:147], v[158:159]
	s_nop 0
	v_pk_add_f32 v[146:147], v[146:147], v[160:161]
	s_nop 0
	v_mul_f32_e32 v150, 0x3d92220c, v146
	v_fma_f32 v150, -v146, v150, s10
	v_mul_f32_e32 v150, v146, v150
	v_mul_f32_e32 v152, 0x3fb8aa3b, v150
	v_fma_f32 v158, v150, s11, -v152
	v_rndne_f32_e32 v159, v152
	v_fmac_f32_e32 v158, 0x32a5705f, v150
	v_sub_f32_e32 v152, v152, v159
	v_add_f32_e32 v152, v152, v158
	v_exp_f32_e32 v152, v152
	v_cvt_i32_f32_e32 v158, v159
	v_cmp_ngt_f32_e32 vcc, s8, v150
	v_ldexp_f32 v152, v152, v158
	v_mul_f32_e32 v158, 0x3d92220c, v147
	v_fma_f32 v158, -v147, v158, s10
	v_mul_f32_e32 v159, v147, v158
	v_mul_f32_e32 v158, 0x3fb8aa3b, v159
	v_fma_f32 v160, v159, s11, -v158
	v_rndne_f32_e32 v161, v158
	v_fmac_f32_e32 v160, 0x32a5705f, v159
	v_sub_f32_e32 v158, v158, v161
	v_add_f32_e32 v158, v158, v160
	v_exp_f32_e32 v160, v158
	v_cvt_i32_f32_e32 v161, v161
	v_cndmask_b32_e32 v152, 0, v152, vcc
	v_cmp_nlt_f32_e32 vcc, s9, v150
	v_ldexp_f32 v150, v160, v161
	s_nop 0
	v_cndmask_b32_e32 v158, v175, v152, vcc
	v_cmp_ngt_f32_e32 vcc, s8, v159
	s_nop 1
	v_cndmask_b32_e32 v150, 0, v150, vcc
	v_cmp_nlt_f32_e32 vcc, s9, v159
	s_nop 1
	v_cndmask_b32_e32 v159, v175, v150, vcc
	v_pk_add_f32 v[158:159], v[158:159], 1.0 op_sel_hi:[1,0]
	s_nop 0
	v_frexp_mant_f32_e32 v150, v158
	v_rcp_f32_e32 v150, v150
	v_frexp_exp_i32_f32_e32 v152, v158
	v_sub_u32_e32 v152, 0, v152
	v_frexp_mant_f32_e32 v160, v159
	v_frexp_exp_i32_f32_e32 v161, v159
	v_cvt_f32_f16_e32 v158, v151
	v_cvt_f32_f16_sdwa v159, v151 dst_sel:DWORD dst_unused:UNUSED_PAD src0_sel:WORD_1
	v_ldexp_f32 v150, v150, v152
	v_cvt_f32_f16_e32 v152, v153
	v_cvt_f32_f16_sdwa v153, v153 dst_sel:DWORD dst_unused:UNUSED_PAD src0_sel:WORD_1
	v_pk_add_f32 v[148:149], v[148:149], v[158:159]
	v_rcp_f32_e32 v160, v160
	v_sub_u32_e32 v151, 0, v161
	v_pk_add_f32 v[148:149], v[148:149], v[152:153]
	v_ldexp_f32 v151, v160, v151
	v_mul_f32_e32 v152, 0x3d92220c, v148
	v_fma_f32 v152, -v148, v152, s10
	v_mul_f32_e32 v152, v148, v152
	v_mul_f32_e32 v153, 0x3fb8aa3b, v152
	v_fma_f32 v158, v152, s11, -v153
	v_rndne_f32_e32 v159, v153
	v_fmac_f32_e32 v158, 0x32a5705f, v152
	v_sub_f32_e32 v153, v153, v159
	v_add_f32_e32 v153, v153, v158
	v_exp_f32_e32 v153, v153
	v_cvt_i32_f32_e32 v158, v159
	v_pk_mul_f32 v[146:147], v[146:147], v[150:151]
	v_mul_f32_e32 v150, 0x3d92220c, v149
	v_fma_f32 v150, -v149, v150, s10
	v_mul_f32_e32 v151, v149, v150
	v_mul_f32_e32 v150, 0x3fb8aa3b, v151
	v_cvt_pk_f16_f32 v146, v146, v147
	v_ldexp_f32 v147, v153, v158
	v_fma_f32 v153, v151, s11, -v150
	v_rndne_f32_e32 v158, v150
	v_fmac_f32_e32 v153, 0x32a5705f, v151
	v_sub_f32_e32 v150, v150, v158
	v_add_f32_e32 v150, v150, v153
	v_exp_f32_e32 v153, v150
	v_cvt_i32_f32_e32 v158, v158
	v_cmp_ngt_f32_e32 vcc, s8, v152
	s_nop 1
	v_cndmask_b32_e32 v147, 0, v147, vcc
	v_cmp_nlt_f32_e32 vcc, s9, v152
	s_nop 1
	v_cndmask_b32_e32 v150, v175, v147, vcc
	v_ldexp_f32 v147, v153, v158
	v_cmp_ngt_f32_e32 vcc, s8, v151
	s_nop 1
	v_cndmask_b32_e32 v147, 0, v147, vcc
	v_cmp_nlt_f32_e32 vcc, s9, v151
	s_nop 1
	v_cndmask_b32_e32 v151, v175, v147, vcc
	v_pk_add_f32 v[150:151], v[150:151], 1.0 op_sel_hi:[1,0]
	s_nop 0
	v_frexp_mant_f32_e32 v147, v150
	v_rcp_f32_e32 v147, v147
	v_frexp_mant_f32_e32 v152, v151
	v_frexp_exp_i32_f32_e32 v150, v150
	v_rcp_f32_e32 v152, v152
	v_sub_u32_e32 v150, 0, v150
	v_ldexp_f32 v150, v147, v150
	v_frexp_exp_i32_f32_e32 v147, v151
	v_sub_u32_e32 v147, 0, v147
	v_ldexp_f32 v151, v152, v147
	v_pk_mul_f32 v[148:149], v[148:149], v[150:151]
	s_nop 0
	v_cvt_pk_f16_f32 v147, v148, v149
	v_subrev_u32_e32 v148, 64, v162
	buffer_store_dwordx2 v[146:147], v148, s[12:15], 0 offen
	s_waitcnt lgkmcnt(0)
	s_barrier
	ds_write2_b32 v177, v142, v143 offset1:32
	ds_write2_b32 v177, v144, v145 offset0:64 offset1:96
	v_add_u32_e32 v142, 0xffffff80, v166
	s_waitcnt lgkmcnt(0)
	s_barrier
	buffer_load_dwordx2 v[146:147], v142, s[0:3], 0 offen
	v_add_u32_e32 v142, 0xffffff80, v167
	buffer_load_dwordx2 v[148:149], v142, s[4:7], 0 offen
	ds_read_b128 v[142:145], v1
	s_waitcnt vmcnt(1)
	v_cvt_f32_f16_e32 v150, v146
	v_cvt_f32_f16_sdwa v151, v146 dst_sel:DWORD dst_unused:UNUSED_PAD src0_sel:WORD_1
	s_waitcnt vmcnt(0)
	v_cvt_f32_f16_e32 v152, v148
	v_cvt_f32_f16_sdwa v153, v148 dst_sel:DWORD dst_unused:UNUSED_PAD src0_sel:WORD_1
	s_waitcnt lgkmcnt(0)
	v_pk_add_f32 v[142:143], v[142:143], v[150:151]
	s_nop 0
	v_pk_add_f32 v[142:143], v[142:143], v[152:153]
	s_nop 0
	v_mul_f32_e32 v146, 0x3d92220c, v142
	v_fma_f32 v146, -v142, v146, s10
	v_mul_f32_e32 v146, v142, v146
	v_mul_f32_e32 v148, 0x3fb8aa3b, v146
	v_fma_f32 v150, v146, s11, -v148
	v_rndne_f32_e32 v151, v148
	v_fmac_f32_e32 v150, 0x32a5705f, v146
	v_sub_f32_e32 v148, v148, v151
	v_add_f32_e32 v148, v148, v150
	v_exp_f32_e32 v148, v148
	v_cvt_i32_f32_e32 v150, v151
	v_cmp_ngt_f32_e32 vcc, s8, v146
	v_ldexp_f32 v148, v148, v150
	v_mul_f32_e32 v150, 0x3d92220c, v143
	v_fma_f32 v150, -v143, v150, s10
	v_mul_f32_e32 v151, v143, v150
	v_mul_f32_e32 v150, 0x3fb8aa3b, v151
	v_fma_f32 v152, v151, s11, -v150
	v_rndne_f32_e32 v153, v150
	v_fmac_f32_e32 v152, 0x32a5705f, v151
	v_sub_f32_e32 v150, v150, v153
	v_add_f32_e32 v150, v150, v152
	v_exp_f32_e32 v152, v150
	v_cvt_i32_f32_e32 v153, v153
	v_cndmask_b32_e32 v148, 0, v148, vcc
	v_cmp_nlt_f32_e32 vcc, s9, v146
	v_ldexp_f32 v146, v152, v153
	s_nop 0
	v_cndmask_b32_e32 v150, v175, v148, vcc
	v_cmp_ngt_f32_e32 vcc, s8, v151
	s_nop 1
	v_cndmask_b32_e32 v146, 0, v146, vcc
	v_cmp_nlt_f32_e32 vcc, s9, v151
	s_nop 1
	v_cndmask_b32_e32 v151, v175, v146, vcc
	v_pk_add_f32 v[150:151], v[150:151], 1.0 op_sel_hi:[1,0]
	s_nop 0
	v_frexp_mant_f32_e32 v146, v150
	v_rcp_f32_e32 v146, v146
	v_frexp_exp_i32_f32_e32 v148, v150
	v_sub_u32_e32 v148, 0, v148
	v_frexp_mant_f32_e32 v152, v151
	v_frexp_exp_i32_f32_e32 v153, v151
	v_cvt_f32_f16_e32 v150, v147
	v_cvt_f32_f16_sdwa v151, v147 dst_sel:DWORD dst_unused:UNUSED_PAD src0_sel:WORD_1
	v_ldexp_f32 v146, v146, v148
	v_cvt_f32_f16_e32 v148, v149
	v_cvt_f32_f16_sdwa v149, v149 dst_sel:DWORD dst_unused:UNUSED_PAD src0_sel:WORD_1
	v_pk_add_f32 v[144:145], v[144:145], v[150:151]
	v_rcp_f32_e32 v152, v152
	v_sub_u32_e32 v147, 0, v153
	v_pk_add_f32 v[144:145], v[144:145], v[148:149]
	v_ldexp_f32 v147, v152, v147
	v_mul_f32_e32 v148, 0x3d92220c, v144
	v_fma_f32 v148, -v144, v148, s10
	v_mul_f32_e32 v148, v144, v148
	v_mul_f32_e32 v149, 0x3fb8aa3b, v148
	v_fma_f32 v150, v148, s11, -v149
	v_rndne_f32_e32 v151, v149
	v_fmac_f32_e32 v150, 0x32a5705f, v148
	v_sub_f32_e32 v149, v149, v151
	v_add_f32_e32 v149, v149, v150
	v_exp_f32_e32 v149, v149
	v_cvt_i32_f32_e32 v150, v151
	v_pk_mul_f32 v[142:143], v[142:143], v[146:147]
	v_mul_f32_e32 v146, 0x3d92220c, v145
	v_fma_f32 v146, -v145, v146, s10
	v_mul_f32_e32 v147, v145, v146
	v_mul_f32_e32 v146, 0x3fb8aa3b, v147
	v_cvt_pk_f16_f32 v142, v142, v143
	v_ldexp_f32 v143, v149, v150
	v_fma_f32 v149, v147, s11, -v146
	v_rndne_f32_e32 v150, v146
	v_fmac_f32_e32 v149, 0x32a5705f, v147
	v_sub_f32_e32 v146, v146, v150
	v_add_f32_e32 v146, v146, v149
	v_exp_f32_e32 v149, v146
	v_cvt_i32_f32_e32 v150, v150
	v_cmp_ngt_f32_e32 vcc, s8, v148
	v_add_u32_e32 v151, s17, v176
	s_nop 0
	v_cndmask_b32_e32 v143, 0, v143, vcc
	v_cmp_nlt_f32_e32 vcc, s9, v148
	s_nop 1
	v_cndmask_b32_e32 v146, v175, v143, vcc
	v_ldexp_f32 v143, v149, v150
	v_cmp_ngt_f32_e32 vcc, s8, v147
	v_add_u32_e32 v150, s18, v174
	s_nop 0
	v_cndmask_b32_e32 v143, 0, v143, vcc
	v_cmp_nlt_f32_e32 vcc, s9, v147
	s_nop 1
	v_cndmask_b32_e32 v147, v175, v143, vcc
	v_pk_add_f32 v[146:147], v[146:147], 1.0 op_sel_hi:[1,0]
	s_nop 0
	v_frexp_mant_f32_e32 v143, v146
	v_rcp_f32_e32 v143, v143
	v_frexp_mant_f32_e32 v148, v147
	v_frexp_exp_i32_f32_e32 v146, v146
	v_rcp_f32_e32 v148, v148
	v_sub_u32_e32 v146, 0, v146
	v_ldexp_f32 v146, v143, v146
	v_frexp_exp_i32_f32_e32 v143, v147
	v_sub_u32_e32 v143, 0, v143
	v_ldexp_f32 v147, v148, v143
	v_pk_mul_f32 v[144:145], v[144:145], v[146:147]
	s_nop 0
	v_cvt_pk_f16_f32 v143, v144, v145
	v_add_u32_e32 v144, 0xffffff80, v162
	buffer_store_dwordx2 v[142:143], v144, s[12:15], 0 offen
	s_waitcnt lgkmcnt(0)
	s_barrier
	ds_write2_b32 v177, v134, v135 offset1:32
	ds_write2_b32 v177, v136, v137 offset0:64 offset1:96
	v_lshlrev_b32_e32 v134, 1, v150
	s_waitcnt lgkmcnt(0)
	s_barrier
	buffer_load_dwordx2 v[142:143], v134, s[0:3], 0 offen
	v_lshlrev_b32_e32 v134, 1, v151
	buffer_load_dwordx2 v[144:145], v134, s[4:7], 0 offen
	ds_read_b128 v[134:137], v1
	s_waitcnt vmcnt(1)
	v_cvt_f32_f16_e32 v146, v142
	v_cvt_f32_f16_sdwa v147, v142 dst_sel:DWORD dst_unused:UNUSED_PAD src0_sel:WORD_1
	s_waitcnt vmcnt(0)
	v_cvt_f32_f16_e32 v148, v144
	v_cvt_f32_f16_sdwa v149, v144 dst_sel:DWORD dst_unused:UNUSED_PAD src0_sel:WORD_1
	s_waitcnt lgkmcnt(0)
	v_pk_add_f32 v[134:135], v[134:135], v[146:147]
	s_nop 0
	v_pk_add_f32 v[146:147], v[134:135], v[148:149]
	s_nop 0
	v_mul_f32_e32 v134, 0x3d92220c, v146
	v_fma_f32 v134, -v146, v134, s10
	v_mul_f32_e32 v142, v146, v134
	v_mul_f32_e32 v134, 0x3fb8aa3b, v142
	v_fma_f32 v135, v142, s11, -v134
	v_rndne_f32_e32 v144, v134
	v_fmac_f32_e32 v135, 0x32a5705f, v142
	v_sub_f32_e32 v134, v134, v144
	v_add_f32_e32 v134, v134, v135
	v_exp_f32_e32 v148, v134
	v_cvt_i32_f32_e32 v144, v144
	v_mfma_f32_16x16x32_f16 v[132:135], v[138:141], v[22:25], v[130:133]
	v_cmp_ngt_f32_e32 vcc, s8, v142
	s_nop 1
	v_mul_f32_e32 v131, 0x3d92220c, v147
	v_fma_f32 v131, -v147, v131, s10
	v_mul_f32_e32 v131, v147, v131
	v_ldexp_f32 v130, v148, v144
	v_mul_f32_e32 v144, 0x3fb8aa3b, v131
	v_fma_f32 v148, v131, s11, -v144
	v_rndne_f32_e32 v149, v144
	v_fmac_f32_e32 v148, 0x32a5705f, v131
	v_sub_f32_e32 v144, v144, v149
	v_add_f32_e32 v144, v144, v148
	v_exp_f32_e32 v144, v144
	v_cvt_i32_f32_e32 v148, v149
	v_cndmask_b32_e32 v130, 0, v130, vcc
	v_cmp_nlt_f32_e32 vcc, s9, v142
	v_ldexp_f32 v142, v144, v148
	s_nop 0
	v_cndmask_b32_e32 v130, v175, v130, vcc
	v_cmp_ngt_f32_e32 vcc, s8, v131
	v_add_u32_e32 v148, s16, v0
	v_cvt_f32_f16_e32 v144, v145
	v_cndmask_b32_e32 v142, 0, v142, vcc
	v_cmp_nlt_f32_e32 vcc, s9, v131
	v_cvt_f32_f16_sdwa v145, v145 dst_sel:DWORD dst_unused:UNUSED_PAD src0_sel:WORD_1
	s_nop 0
	v_cndmask_b32_e32 v131, v175, v142, vcc
	v_pk_add_f32 v[130:131], v[130:131], 1.0 op_sel_hi:[1,0]
	s_nop 0
	v_frexp_mant_f32_e32 v142, v130
	v_rcp_f32_e32 v142, v142
	v_frexp_exp_i32_f32_e32 v0, v130
	v_sub_u32_e32 v0, 0, v0
	v_ldexp_f32 v130, v142, v0
	v_cvt_f32_f16_e32 v142, v143
	v_cvt_f32_f16_sdwa v143, v143 dst_sel:DWORD dst_unused:UNUSED_PAD src0_sel:WORD_1
	v_frexp_mant_f32_e32 v0, v131
	v_rcp_f32_e32 v0, v0
	v_frexp_exp_i32_f32_e32 v131, v131
	v_pk_add_f32 v[136:137], v[136:137], v[142:143]
	v_sub_u32_e32 v131, 0, v131
	v_pk_add_f32 v[136:137], v[136:137], v[144:145]
	v_ldexp_f32 v131, v0, v131
	v_mul_f32_e32 v142, 0x3d92220c, v136
	v_fma_f32 v142, -v136, v142, s10
	v_mul_f32_e32 v142, v136, v142
	v_mul_f32_e32 v143, 0x3fb8aa3b, v142
	v_fma_f32 v144, v142, s11, -v143
	v_rndne_f32_e32 v145, v143
	v_fmac_f32_e32 v144, 0x32a5705f, v142
	v_sub_f32_e32 v143, v143, v145
	v_add_f32_e32 v143, v143, v144
	v_exp_f32_e32 v143, v143
	v_cvt_i32_f32_e32 v144, v145
	v_pk_mul_f32 v[130:131], v[146:147], v[130:131]
	v_cmp_ngt_f32_e32 vcc, s8, v142
	v_cvt_pk_f16_f32 v130, v130, v131
	v_mul_f32_e32 v131, 0x3d92220c, v137
	v_fma_f32 v131, -v137, v131, s10
	v_mul_f32_e32 v131, v137, v131
	v_ldexp_f32 v0, v143, v144
	v_mul_f32_e32 v143, 0x3fb8aa3b, v131
	v_fma_f32 v144, v131, s11, -v143
	v_rndne_f32_e32 v145, v143
	v_fmac_f32_e32 v144, 0x32a5705f, v131
	v_sub_f32_e32 v143, v143, v145
	v_add_f32_e32 v143, v143, v144
	v_exp_f32_e32 v143, v143
	v_cvt_i32_f32_e32 v144, v145
	v_cndmask_b32_e32 v0, 0, v0, vcc
	v_cmp_nlt_f32_e32 vcc, s9, v142
	s_nop 1
	v_cndmask_b32_e32 v142, v175, v0, vcc
	v_ldexp_f32 v0, v143, v144
	v_cmp_ngt_f32_e32 vcc, s8, v131
	s_nop 1
	v_cndmask_b32_e32 v0, 0, v0, vcc
	v_cmp_nlt_f32_e32 vcc, s9, v131
	s_nop 1
	v_cndmask_b32_e32 v143, v175, v0, vcc
	v_pk_add_f32 v[142:143], v[142:143], 1.0 op_sel_hi:[1,0]
	s_nop 0
	v_frexp_mant_f32_e32 v0, v142
	v_rcp_f32_e32 v0, v0
	v_frexp_exp_i32_f32_e32 v131, v142
	v_frexp_mant_f32_e32 v142, v143
	v_rcp_f32_e32 v144, v142
	v_sub_u32_e32 v131, 0, v131
	v_ldexp_f32 v142, v0, v131
	v_frexp_exp_i32_f32_e32 v0, v143
	v_sub_u32_e32 v0, 0, v0
	v_ldexp_f32 v143, v144, v0
	v_pk_mul_f32 v[136:137], v[136:137], v[142:143]
	v_lshlrev_b32_e32 v0, 1, v148
	v_cvt_pk_f16_f32 v131, v136, v137
	buffer_store_dwordx2 v[130:131], v0, s[12:15], 0 offen
	v_add_u32_e32 v0, s18, v150
	v_add_u32_e32 v130, s17, v151
	v_lshlrev_b32_e32 v131, 1, v0
	s_waitcnt lgkmcnt(0)
	s_barrier
	ds_write2_b32 v177, v132, v133 offset1:32
	ds_write2_b32 v177, v134, v135 offset0:64 offset1:96
	s_waitcnt lgkmcnt(0)
	s_barrier
	buffer_load_dwordx2 v[136:137], v131, s[0:3], 0 offen
	v_lshlrev_b32_e32 v149, 1, v130
	buffer_load_dwordx2 v[146:147], v149, s[4:7], 0 offen
	ds_read_b128 v[132:135], v1
	s_waitcnt vmcnt(1)
	v_cvt_f32_f16_e32 v142, v136
	v_cvt_f32_f16_sdwa v143, v136 dst_sel:DWORD dst_unused:UNUSED_PAD src0_sel:WORD_1
	s_waitcnt vmcnt(0)
	v_cvt_f32_f16_e32 v144, v146
	v_cvt_f32_f16_sdwa v145, v146 dst_sel:DWORD dst_unused:UNUSED_PAD src0_sel:WORD_1
	s_waitcnt lgkmcnt(0)
	v_pk_add_f32 v[132:133], v[132:133], v[142:143]
	s_nop 0
	v_pk_add_f32 v[132:133], v[132:133], v[144:145]
	s_nop 0
	v_mul_f32_e32 v136, 0x3d92220c, v132
	v_fma_f32 v136, -v132, v136, s10
	v_mul_f32_e32 v136, v132, v136
	v_mul_f32_e32 v142, 0x3fb8aa3b, v136
	v_fma_f32 v143, v136, s11, -v142
	v_rndne_f32_e32 v144, v142
	v_fmac_f32_e32 v143, 0x32a5705f, v136
	v_sub_f32_e32 v142, v142, v144
	v_add_f32_e32 v142, v142, v143
	v_exp_f32_e32 v146, v142
	v_cvt_i32_f32_e32 v150, v144
	v_mfma_f32_16x16x32_f16 v[142:145], v[138:141], v[34:37], v[126:129]
	v_cmp_ngt_f32_e32 vcc, s8, v136
	s_nop 1
	v_mul_f32_e32 v127, 0x3d92220c, v133
	v_fma_f32 v127, -v133, v127, s10
	v_mul_f32_e32 v127, v133, v127
	v_mul_f32_e32 v128, 0x3fb8aa3b, v127
	v_ldexp_f32 v126, v146, v150
	v_fma_f32 v129, v127, s11, -v128
	v_rndne_f32_e32 v146, v128
	v_fmac_f32_e32 v129, 0x32a5705f, v127
	v_sub_f32_e32 v128, v128, v146
	v_add_f32_e32 v128, v128, v129
	v_exp_f32_e32 v128, v128
	v_cvt_i32_f32_e32 v129, v146
	v_cndmask_b32_e32 v126, 0, v126, vcc
	v_cmp_nlt_f32_e32 vcc, s9, v136
	v_cvt_f32_f16_e32 v136, v137
	v_ldexp_f32 v128, v128, v129
	v_cndmask_b32_e32 v126, v175, v126, vcc
	v_cmp_ngt_f32_e32 vcc, s8, v127
	v_cvt_f32_f16_sdwa v137, v137 dst_sel:DWORD dst_unused:UNUSED_PAD src0_sel:WORD_1
	v_cvt_f32_f16_e32 v146, v147
	v_cndmask_b32_e32 v128, 0, v128, vcc
	v_cmp_nlt_f32_e32 vcc, s9, v127
	v_cvt_f32_f16_sdwa v147, v147 dst_sel:DWORD dst_unused:UNUSED_PAD src0_sel:WORD_1
	v_pk_add_f32 v[134:135], v[134:135], v[136:137]
	v_cndmask_b32_e32 v127, v175, v128, vcc
	v_pk_add_f32 v[128:129], v[126:127], 1.0 op_sel_hi:[1,0]
	v_pk_add_f32 v[134:135], v[134:135], v[146:147]
	v_frexp_mant_f32_e32 v126, v128
	v_rcp_f32_e32 v127, v126
	v_frexp_exp_i32_f32_e32 v128, v128
	v_sub_u32_e32 v128, 0, v128
	v_mul_f32_e32 v136, 0x3d92220c, v134
	v_ldexp_f32 v128, v127, v128
	v_frexp_mant_f32_e32 v127, v129
	v_rcp_f32_e32 v127, v127
	v_fma_f32 v136, -v134, v136, s10
	v_mul_f32_e32 v136, v134, v136
	v_frexp_exp_i32_f32_e32 v129, v129
	v_mul_f32_e32 v137, 0x3fb8aa3b, v136
	v_sub_u32_e32 v129, 0, v129
	v_fma_f32 v146, v136, s11, -v137
	v_rndne_f32_e32 v147, v137
	v_fmac_f32_e32 v146, 0x32a5705f, v136
	v_sub_f32_e32 v137, v137, v147
	v_ldexp_f32 v129, v127, v129
	v_add_f32_e32 v137, v137, v146
	v_pk_mul_f32 v[128:129], v[132:133], v[128:129]
	v_exp_f32_e32 v137, v137
	v_cvt_i32_f32_e32 v146, v147
	v_cvt_pk_f16_f32 v128, v128, v129
	v_mul_f32_e32 v129, 0x3d92220c, v135
	v_fma_f32 v129, -v135, v129, s10
	v_mul_f32_e32 v129, v135, v129
	v_mul_f32_e32 v132, 0x3fb8aa3b, v129
	v_ldexp_f32 v127, v137, v146
	v_fma_f32 v133, v129, s11, -v132
	v_rndne_f32_e32 v137, v132
	v_fmac_f32_e32 v133, 0x32a5705f, v129
	v_sub_f32_e32 v132, v132, v137
	v_add_f32_e32 v132, v132, v133
	v_exp_f32_e32 v133, v132
	v_cvt_i32_f32_e32 v137, v137
	v_cmp_ngt_f32_e32 vcc, s8, v136
	v_add_u32_e32 v126, s16, v148
	s_nop 0
	v_cndmask_b32_e32 v127, 0, v127, vcc
	v_cmp_nlt_f32_e32 vcc, s9, v136
	s_nop 1
	v_cndmask_b32_e32 v132, v175, v127, vcc
	v_ldexp_f32 v127, v133, v137
	v_cmp_ngt_f32_e32 vcc, s8, v129
	s_nop 1
	v_cndmask_b32_e32 v127, 0, v127, vcc
	v_cmp_nlt_f32_e32 vcc, s9, v129
	s_nop 1
	v_cndmask_b32_e32 v133, v175, v127, vcc
	v_pk_add_f32 v[132:133], v[132:133], 1.0 op_sel_hi:[1,0]
	s_nop 0
	v_frexp_mant_f32_e32 v127, v132
	v_rcp_f32_e32 v127, v127
	v_frexp_exp_i32_f32_e32 v129, v132
	v_frexp_mant_f32_e32 v132, v133
	v_rcp_f32_e32 v136, v132
	v_sub_u32_e32 v129, 0, v129
	v_ldexp_f32 v132, v127, v129
	v_frexp_exp_i32_f32_e32 v127, v133
	v_sub_u32_e32 v127, 0, v127
	v_ldexp_f32 v133, v136, v127
	v_pk_mul_f32 v[132:133], v[134:135], v[132:133]
	v_lshlrev_b32_e32 v127, 1, v126
	v_cvt_pk_f16_f32 v129, v132, v133
	buffer_store_dwordx2 v[128:129], v127, s[12:15], 0 offen
	s_waitcnt lgkmcnt(0)
	s_barrier
	ds_write2_b32 v177, v142, v143 offset1:32
	ds_write2_b32 v177, v144, v145 offset0:64 offset1:96
	s_waitcnt lgkmcnt(0)
	s_barrier
	buffer_load_dwordx2 v[128:129], v131, s[0:3], 0 offen offset:64
	buffer_load_dwordx2 v[136:137], v149, s[4:7], 0 offen offset:64
	ds_read_b128 v[132:135], v1
	s_waitcnt vmcnt(1)
	v_cvt_f32_f16_e32 v142, v128
	v_cvt_f32_f16_sdwa v143, v128 dst_sel:DWORD dst_unused:UNUSED_PAD src0_sel:WORD_1
	s_waitcnt vmcnt(0)
	v_cvt_f32_f16_e32 v144, v136
	v_cvt_f32_f16_sdwa v145, v136 dst_sel:DWORD dst_unused:UNUSED_PAD src0_sel:WORD_1
	s_waitcnt lgkmcnt(0)
	v_pk_add_f32 v[132:133], v[132:133], v[142:143]
	s_nop 0
	v_pk_add_f32 v[132:133], v[132:133], v[144:145]
	s_nop 0
	v_mul_f32_e32 v128, 0x3d92220c, v132
	v_fma_f32 v128, -v132, v128, s10
	v_mul_f32_e32 v128, v132, v128
	v_mul_f32_e32 v136, 0x3fb8aa3b, v128
	v_fma_f32 v142, v128, s11, -v136
	v_rndne_f32_e32 v143, v136
	v_fmac_f32_e32 v142, 0x32a5705f, v128
	v_sub_f32_e32 v136, v136, v143
	v_add_f32_e32 v136, v136, v142
	v_exp_f32_e32 v136, v136
	v_cvt_i32_f32_e32 v142, v143
	v_cmp_ngt_f32_e32 vcc, s8, v128
	v_ldexp_f32 v136, v136, v142
	v_mul_f32_e32 v142, 0x3d92220c, v133
	v_fma_f32 v142, -v133, v142, s10
	v_mul_f32_e32 v143, v133, v142
	v_mul_f32_e32 v142, 0x3fb8aa3b, v143
	v_fma_f32 v144, v143, s11, -v142
	v_rndne_f32_e32 v145, v142
	v_fmac_f32_e32 v144, 0x32a5705f, v143
	v_sub_f32_e32 v142, v142, v145
	v_add_f32_e32 v142, v142, v144
	v_exp_f32_e32 v144, v142
	v_cvt_i32_f32_e32 v145, v145
	v_cndmask_b32_e32 v136, 0, v136, vcc
	v_cmp_nlt_f32_e32 vcc, s9, v128
	v_ldexp_f32 v128, v144, v145
	s_nop 0
	v_cndmask_b32_e32 v142, v175, v136, vcc
	v_cmp_ngt_f32_e32 vcc, s8, v143
	s_nop 1
	v_cndmask_b32_e32 v128, 0, v128, vcc
	v_cmp_nlt_f32_e32 vcc, s9, v143
	s_nop 1
	v_cndmask_b32_e32 v143, v175, v128, vcc
	v_pk_add_f32 v[142:143], v[142:143], 1.0 op_sel_hi:[1,0]
	s_nop 0
	v_frexp_mant_f32_e32 v128, v142
	v_rcp_f32_e32 v128, v128
	v_frexp_exp_i32_f32_e32 v136, v142
	v_sub_u32_e32 v136, 0, v136
	v_frexp_mant_f32_e32 v144, v143
	v_frexp_exp_i32_f32_e32 v145, v143
	v_cvt_f32_f16_e32 v142, v129
	v_cvt_f32_f16_sdwa v143, v129 dst_sel:DWORD dst_unused:UNUSED_PAD src0_sel:WORD_1
	v_ldexp_f32 v128, v128, v136
	v_cvt_f32_f16_e32 v136, v137
	v_cvt_f32_f16_sdwa v137, v137 dst_sel:DWORD dst_unused:UNUSED_PAD src0_sel:WORD_1
	v_pk_add_f32 v[134:135], v[134:135], v[142:143]
	v_rcp_f32_e32 v144, v144
	v_sub_u32_e32 v129, 0, v145
	v_pk_add_f32 v[134:135], v[134:135], v[136:137]
	v_ldexp_f32 v129, v144, v129
	v_mul_f32_e32 v136, 0x3d92220c, v134
	v_fma_f32 v136, -v134, v136, s10
	v_mul_f32_e32 v136, v134, v136
	v_mul_f32_e32 v137, 0x3fb8aa3b, v136
	v_fma_f32 v142, v136, s11, -v137
	v_rndne_f32_e32 v143, v137
	v_fmac_f32_e32 v142, 0x32a5705f, v136
	v_sub_f32_e32 v137, v137, v143
	v_add_f32_e32 v137, v137, v142
	v_exp_f32_e32 v137, v137
	v_cvt_i32_f32_e32 v142, v143
	v_pk_mul_f32 v[128:129], v[132:133], v[128:129]
	v_mul_f32_e32 v132, 0x3d92220c, v135
	v_fma_f32 v132, -v135, v132, s10
	v_mul_f32_e32 v133, v135, v132
	v_mul_f32_e32 v132, 0x3fb8aa3b, v133
	v_cvt_pk_f16_f32 v128, v128, v129
	v_ldexp_f32 v129, v137, v142
	v_fma_f32 v137, v133, s11, -v132
	v_rndne_f32_e32 v142, v132
	v_fmac_f32_e32 v137, 0x32a5705f, v133
	v_sub_f32_e32 v132, v132, v142
	v_add_f32_e32 v132, v132, v137
	v_exp_f32_e32 v137, v132
	v_cvt_i32_f32_e32 v142, v142
	v_cmp_ngt_f32_e32 vcc, s8, v136
	s_nop 1
	v_cndmask_b32_e32 v129, 0, v129, vcc
	v_cmp_nlt_f32_e32 vcc, s9, v136
	s_nop 1
	v_cndmask_b32_e32 v132, v175, v129, vcc
	v_ldexp_f32 v129, v137, v142
	v_cmp_ngt_f32_e32 vcc, s8, v133
	s_nop 1
	v_cndmask_b32_e32 v129, 0, v129, vcc
	v_cmp_nlt_f32_e32 vcc, s9, v133
	s_nop 1
	v_cndmask_b32_e32 v133, v175, v129, vcc
	v_pk_add_f32 v[132:133], v[132:133], 1.0 op_sel_hi:[1,0]
	s_nop 0
	v_frexp_mant_f32_e32 v129, v132
	v_rcp_f32_e32 v129, v129
	v_frexp_mant_f32_e32 v136, v133
	v_frexp_exp_i32_f32_e32 v132, v132
	v_rcp_f32_e32 v136, v136
	v_sub_u32_e32 v132, 0, v132
	v_ldexp_f32 v132, v129, v132
	v_frexp_exp_i32_f32_e32 v129, v133
	v_sub_u32_e32 v129, 0, v129
	v_ldexp_f32 v133, v136, v129
	v_pk_mul_f32 v[132:133], v[134:135], v[132:133]
	s_nop 0
	v_cvt_pk_f16_f32 v129, v132, v133
	buffer_store_dwordx2 v[128:129], v127, s[12:15], 0 offen offset:64
	s_waitcnt lgkmcnt(0)
	s_barrier
	ds_write2_b32 v177, v122, v123 offset1:32
	ds_write2_b32 v177, v124, v125 offset0:64 offset1:96
	s_waitcnt lgkmcnt(0)
	s_barrier
	buffer_load_dwordx2 v[128:129], v131, s[0:3], 0 offen offset:128
	buffer_load_dwordx2 v[132:133], v149, s[4:7], 0 offen offset:128
	ds_read_b128 v[122:125], v1
	s_waitcnt vmcnt(1)
	v_cvt_f32_f16_e32 v134, v128
	v_cvt_f32_f16_sdwa v135, v128 dst_sel:DWORD dst_unused:UNUSED_PAD src0_sel:WORD_1
	s_waitcnt vmcnt(0)
	v_cvt_f32_f16_e32 v136, v132
	v_cvt_f32_f16_sdwa v137, v132 dst_sel:DWORD dst_unused:UNUSED_PAD src0_sel:WORD_1
	s_waitcnt lgkmcnt(0)
	v_pk_add_f32 v[122:123], v[122:123], v[134:135]
	s_nop 0
	v_pk_add_f32 v[122:123], v[122:123], v[136:137]
	s_nop 0
	v_mul_f32_e32 v128, 0x3d92220c, v122
	v_fma_f32 v128, -v122, v128, s10
	v_mul_f32_e32 v128, v122, v128
	v_mul_f32_e32 v131, 0x3fb8aa3b, v128
	v_fma_f32 v132, v128, s11, -v131
	v_rndne_f32_e32 v134, v131
	v_fmac_f32_e32 v132, 0x32a5705f, v128
	v_sub_f32_e32 v131, v131, v134
	v_add_f32_e32 v131, v131, v132
	v_exp_f32_e32 v131, v131
	v_cvt_i32_f32_e32 v132, v134
	v_cmp_ngt_f32_e32 vcc, s8, v128
	v_ldexp_f32 v131, v131, v132
	v_mul_f32_e32 v132, 0x3d92220c, v123
	v_fma_f32 v132, -v123, v132, s10
	v_mul_f32_e32 v132, v123, v132
	v_mul_f32_e32 v134, 0x3fb8aa3b, v132
	v_fma_f32 v135, v132, s11, -v134
	v_rndne_f32_e32 v136, v134
	v_fmac_f32_e32 v135, 0x32a5705f, v132
	v_sub_f32_e32 v134, v134, v136
	v_add_f32_e32 v134, v134, v135
	v_exp_f32_e32 v135, v134
	v_cvt_i32_f32_e32 v136, v136
	v_cndmask_b32_e32 v131, 0, v131, vcc
	v_cmp_nlt_f32_e32 vcc, s9, v128
	v_ldexp_f32 v128, v135, v136
	s_nop 0
	v_cndmask_b32_e32 v134, v175, v131, vcc
	v_cmp_ngt_f32_e32 vcc, s8, v132
	s_nop 1
	v_cndmask_b32_e32 v128, 0, v128, vcc
	v_cmp_nlt_f32_e32 vcc, s9, v132
	v_cvt_f32_f16_e32 v132, v133
	v_cvt_f32_f16_sdwa v133, v133 dst_sel:DWORD dst_unused:UNUSED_PAD src0_sel:WORD_1
	v_cndmask_b32_e32 v135, v175, v128, vcc
	v_pk_add_f32 v[134:135], v[134:135], 1.0 op_sel_hi:[1,0]
	s_nop 0
	v_frexp_mant_f32_e32 v128, v134
	v_rcp_f32_e32 v128, v128
	v_frexp_exp_i32_f32_e32 v131, v134
	v_sub_u32_e32 v131, 0, v131
	v_frexp_exp_i32_f32_e32 v136, v135
	v_ldexp_f32 v128, v128, v131
	v_frexp_mant_f32_e32 v131, v135
	v_cvt_f32_f16_e32 v134, v129
	v_cvt_f32_f16_sdwa v135, v129 dst_sel:DWORD dst_unused:UNUSED_PAD src0_sel:WORD_1
	v_rcp_f32_e32 v131, v131
	v_sub_u32_e32 v129, 0, v136
	v_pk_add_f32 v[124:125], v[124:125], v[134:135]
	s_nop 0
	v_pk_add_f32 v[124:125], v[124:125], v[132:133]
	v_ldexp_f32 v129, v131, v129
	v_mul_f32_e32 v132, 0x3d92220c, v124
	v_fma_f32 v132, -v124, v132, s10
	v_mul_f32_e32 v132, v124, v132
	v_mul_f32_e32 v133, 0x3fb8aa3b, v132
	v_fma_f32 v134, v132, s11, -v133
	v_rndne_f32_e32 v135, v133
	v_fmac_f32_e32 v134, 0x32a5705f, v132
	v_sub_f32_e32 v133, v133, v135
	v_add_f32_e32 v133, v133, v134
	v_exp_f32_e32 v133, v133
	v_cvt_i32_f32_e32 v134, v135
	v_pk_mul_f32 v[122:123], v[122:123], v[128:129]
	v_mul_f32_e32 v128, 0x3d92220c, v125
	v_fma_f32 v128, -v125, v128, s10
	v_mul_f32_e32 v129, v125, v128
	v_mul_f32_e32 v128, 0x3fb8aa3b, v129
	v_cvt_pk_f16_f32 v122, v122, v123
	v_ldexp_f32 v123, v133, v134
	v_fma_f32 v131, v129, s11, -v128
	v_rndne_f32_e32 v133, v128
	v_fmac_f32_e32 v131, 0x32a5705f, v129
	v_sub_f32_e32 v128, v128, v133
	v_add_f32_e32 v128, v128, v131
	v_exp_f32_e32 v131, v128
	v_cvt_i32_f32_e32 v133, v133
	v_cmp_ngt_f32_e32 vcc, s8, v132
	s_nop 1
	v_cndmask_b32_e32 v123, 0, v123, vcc
	v_cmp_nlt_f32_e32 vcc, s9, v132
	s_nop 1
	v_cndmask_b32_e32 v128, v175, v123, vcc
	v_ldexp_f32 v123, v131, v133
	v_cmp_ngt_f32_e32 vcc, s8, v129
	s_nop 1
	v_cndmask_b32_e32 v123, 0, v123, vcc
	v_cmp_nlt_f32_e32 vcc, s9, v129
	s_nop 1
	v_cndmask_b32_e32 v129, v175, v123, vcc
	v_pk_add_f32 v[128:129], v[128:129], 1.0 op_sel_hi:[1,0]
	s_nop 0
	v_frexp_mant_f32_e32 v123, v128
	v_rcp_f32_e32 v123, v123
	v_frexp_mant_f32_e32 v131, v129
	v_frexp_exp_i32_f32_e32 v128, v128
	v_rcp_f32_e32 v131, v131
	v_sub_u32_e32 v128, 0, v128
	v_ldexp_f32 v128, v123, v128
	v_frexp_exp_i32_f32_e32 v123, v129
	v_sub_u32_e32 v123, 0, v123
	v_ldexp_f32 v129, v131, v123
	v_pk_mul_f32 v[124:125], v[124:125], v[128:129]
	v_add_u32_e32 v131, 0x60, v130
	v_cvt_pk_f16_f32 v123, v124, v125
	buffer_store_dwordx2 v[122:123], v127, s[12:15], 0 offen offset:128
	v_add_u32_e32 v127, 0x60, v0
	s_waitcnt lgkmcnt(0)
	s_barrier
	ds_write2_b32 v177, v114, v115 offset1:32
	ds_write2_b32 v177, v116, v117 offset0:64 offset1:96
	v_lshlrev_b32_e32 v114, 1, v127
	s_waitcnt lgkmcnt(0)
	s_barrier
	buffer_load_dwordx2 v[122:123], v114, s[0:3], 0 offen
	v_lshlrev_b32_e32 v114, 1, v131
	buffer_load_dwordx2 v[124:125], v114, s[4:7], 0 offen
	ds_read_b128 v[114:117], v1
	v_add_lshl_u32 v127, v127, s18, 1
	v_add_u32_e32 v0, s18, v0
	s_waitcnt vmcnt(1)
	v_cvt_f32_f16_e32 v128, v122
	v_cvt_f32_f16_sdwa v129, v122 dst_sel:DWORD dst_unused:UNUSED_PAD src0_sel:WORD_1
	s_waitcnt vmcnt(0)
	v_cvt_f32_f16_e32 v132, v124
	v_cvt_f32_f16_sdwa v133, v124 dst_sel:DWORD dst_unused:UNUSED_PAD src0_sel:WORD_1
	s_waitcnt lgkmcnt(0)
	v_pk_add_f32 v[114:115], v[114:115], v[128:129]
	s_nop 0
	v_pk_add_f32 v[114:115], v[114:115], v[132:133]
	s_nop 0
	v_mul_f32_e32 v122, 0x3d92220c, v114
	v_fma_f32 v122, -v114, v122, s10
	v_mul_f32_e32 v122, v114, v122
	v_mul_f32_e32 v124, 0x3fb8aa3b, v122
	v_fma_f32 v128, v122, s11, -v124
	v_rndne_f32_e32 v129, v124
	v_fmac_f32_e32 v128, 0x32a5705f, v122
	v_sub_f32_e32 v124, v124, v129
	v_add_f32_e32 v124, v124, v128
	v_exp_f32_e32 v124, v124
	v_cvt_i32_f32_e32 v128, v129
	v_cmp_ngt_f32_e32 vcc, s8, v122
	v_ldexp_f32 v124, v124, v128
	v_mul_f32_e32 v128, 0x3d92220c, v115
	v_fma_f32 v128, -v115, v128, s10
	v_mul_f32_e32 v129, v115, v128
	v_mul_f32_e32 v128, 0x3fb8aa3b, v129
	v_fma_f32 v132, v129, s11, -v128
	v_rndne_f32_e32 v133, v128
	v_fmac_f32_e32 v132, 0x32a5705f, v129
	v_sub_f32_e32 v128, v128, v133
	v_add_f32_e32 v128, v128, v132
	v_exp_f32_e32 v132, v128
	v_cvt_i32_f32_e32 v133, v133
	v_cndmask_b32_e32 v124, 0, v124, vcc
	v_cmp_nlt_f32_e32 vcc, s9, v122
	v_ldexp_f32 v122, v132, v133
	s_nop 0
	v_cndmask_b32_e32 v128, v175, v124, vcc
	v_cmp_ngt_f32_e32 vcc, s8, v129
	v_add_u32_e32 v132, 0x60, v126
	s_nop 0
	v_cndmask_b32_e32 v122, 0, v122, vcc
	v_cmp_nlt_f32_e32 vcc, s9, v129
	s_nop 1
	v_cndmask_b32_e32 v129, v175, v122, vcc
	v_pk_add_f32 v[128:129], v[128:129], 1.0 op_sel_hi:[1,0]
	s_nop 0
	v_frexp_mant_f32_e32 v122, v128
	v_rcp_f32_e32 v122, v122
	v_frexp_exp_i32_f32_e32 v124, v128
	v_sub_u32_e32 v124, 0, v124
	v_frexp_mant_f32_e32 v133, v129
	v_frexp_exp_i32_f32_e32 v134, v129
	v_cvt_f32_f16_e32 v128, v123
	v_cvt_f32_f16_sdwa v129, v123 dst_sel:DWORD dst_unused:UNUSED_PAD src0_sel:WORD_1
	v_ldexp_f32 v122, v122, v124
	v_cvt_f32_f16_e32 v124, v125
	v_cvt_f32_f16_sdwa v125, v125 dst_sel:DWORD dst_unused:UNUSED_PAD src0_sel:WORD_1
	v_pk_add_f32 v[116:117], v[116:117], v[128:129]
	v_rcp_f32_e32 v133, v133
	v_sub_u32_e32 v123, 0, v134
	v_pk_add_f32 v[116:117], v[116:117], v[124:125]
	v_ldexp_f32 v123, v133, v123
	v_mul_f32_e32 v124, 0x3d92220c, v116
	v_fma_f32 v124, -v116, v124, s10
	v_mul_f32_e32 v124, v116, v124
	v_mul_f32_e32 v125, 0x3fb8aa3b, v124
	v_fma_f32 v128, v124, s11, -v125
	v_rndne_f32_e32 v129, v125
	v_fmac_f32_e32 v128, 0x32a5705f, v124
	v_sub_f32_e32 v125, v125, v129
	v_add_f32_e32 v125, v125, v128
	v_exp_f32_e32 v125, v125
	v_cvt_i32_f32_e32 v128, v129
	v_pk_mul_f32 v[114:115], v[114:115], v[122:123]
	v_mul_f32_e32 v122, 0x3d92220c, v117
	v_fma_f32 v122, -v117, v122, s10
	v_mul_f32_e32 v123, v117, v122
	v_mul_f32_e32 v122, 0x3fb8aa3b, v123
	v_cvt_pk_f16_f32 v114, v114, v115
	v_ldexp_f32 v115, v125, v128
	v_fma_f32 v125, v123, s11, -v122
	v_rndne_f32_e32 v128, v122
	v_fmac_f32_e32 v125, 0x32a5705f, v123
	v_sub_f32_e32 v122, v122, v128
	v_add_f32_e32 v122, v122, v125
	v_exp_f32_e32 v125, v122
	v_cvt_i32_f32_e32 v128, v128
	v_cmp_ngt_f32_e32 vcc, s8, v124
	s_nop 1
	v_cndmask_b32_e32 v115, 0, v115, vcc
	v_cmp_nlt_f32_e32 vcc, s9, v124
	s_nop 1
	v_cndmask_b32_e32 v122, v175, v115, vcc
	v_ldexp_f32 v115, v125, v128
	v_cmp_ngt_f32_e32 vcc, s8, v123
	v_add_lshl_u32 v128, v131, s17, 1
	s_nop 0
	v_cndmask_b32_e32 v115, 0, v115, vcc
	v_cmp_nlt_f32_e32 vcc, s9, v123
	s_nop 1
	v_cndmask_b32_e32 v123, v175, v115, vcc
	v_pk_add_f32 v[122:123], v[122:123], 1.0 op_sel_hi:[1,0]
	s_nop 0
	v_frexp_mant_f32_e32 v115, v122
	v_rcp_f32_e32 v115, v115
	v_frexp_mant_f32_e32 v124, v123
	v_frexp_exp_i32_f32_e32 v122, v122
	v_rcp_f32_e32 v124, v124
	v_sub_u32_e32 v122, 0, v122
	v_ldexp_f32 v122, v115, v122
	v_frexp_exp_i32_f32_e32 v115, v123
	v_sub_u32_e32 v115, 0, v115
	v_ldexp_f32 v123, v124, v115
	v_pk_mul_f32 v[116:117], v[116:117], v[122:123]
	s_nop 0
	v_cvt_pk_f16_f32 v115, v116, v117
	v_lshlrev_b32_e32 v116, 1, v132
	buffer_store_dwordx2 v[114:115], v116, s[12:15], 0 offen
	s_waitcnt lgkmcnt(0)
	s_barrier
	ds_write2_b32 v177, v110, v111 offset1:32
	ds_write2_b32 v177, v112, v113 offset0:64 offset1:96
	s_waitcnt lgkmcnt(0)
	s_barrier
	buffer_load_dwordx2 v[114:115], v127, s[0:3], 0 offen
	buffer_load_dwordx2 v[116:117], v128, s[4:7], 0 offen
	ds_read_b128 v[110:113], v1
	s_waitcnt vmcnt(1)
	v_cvt_f32_f16_e32 v122, v114
	v_cvt_f32_f16_sdwa v123, v114 dst_sel:DWORD dst_unused:UNUSED_PAD src0_sel:WORD_1
	s_waitcnt vmcnt(0)
	v_cvt_f32_f16_e32 v124, v116
	v_cvt_f32_f16_sdwa v125, v116 dst_sel:DWORD dst_unused:UNUSED_PAD src0_sel:WORD_1
	s_waitcnt lgkmcnt(0)
	v_pk_add_f32 v[110:111], v[110:111], v[122:123]
	s_nop 0
	v_pk_add_f32 v[110:111], v[110:111], v[124:125]
	s_nop 0
	v_mul_f32_e32 v114, 0x3d92220c, v110
	v_fma_f32 v114, -v110, v114, s10
	v_mul_f32_e32 v114, v110, v114
	v_mul_f32_e32 v116, 0x3fb8aa3b, v114
	v_fma_f32 v122, v114, s11, -v116
	v_rndne_f32_e32 v123, v116
	v_fmac_f32_e32 v122, 0x32a5705f, v114
	v_sub_f32_e32 v116, v116, v123
	v_add_f32_e32 v116, v116, v122
	v_exp_f32_e32 v116, v116
	v_cvt_i32_f32_e32 v122, v123
	v_cmp_ngt_f32_e32 vcc, s8, v114
	v_ldexp_f32 v116, v116, v122
	v_mul_f32_e32 v122, 0x3d92220c, v111
	v_fma_f32 v122, -v111, v122, s10
	v_mul_f32_e32 v123, v111, v122
	v_mul_f32_e32 v122, 0x3fb8aa3b, v123
	v_fma_f32 v124, v123, s11, -v122
	v_rndne_f32_e32 v125, v122
	v_fmac_f32_e32 v124, 0x32a5705f, v123
	v_sub_f32_e32 v122, v122, v125
	v_add_f32_e32 v122, v122, v124
	v_exp_f32_e32 v124, v122
	v_cvt_i32_f32_e32 v125, v125
	v_cndmask_b32_e32 v116, 0, v116, vcc
	v_cmp_nlt_f32_e32 vcc, s9, v114
	v_ldexp_f32 v114, v124, v125
	s_nop 0
	v_cndmask_b32_e32 v122, v175, v116, vcc
	v_cmp_ngt_f32_e32 vcc, s8, v123
	s_nop 1
	v_cndmask_b32_e32 v114, 0, v114, vcc
	v_cmp_nlt_f32_e32 vcc, s9, v123
	s_nop 1
	v_cndmask_b32_e32 v123, v175, v114, vcc
	v_pk_add_f32 v[122:123], v[122:123], 1.0 op_sel_hi:[1,0]
	s_nop 0
	v_frexp_mant_f32_e32 v114, v122
	v_rcp_f32_e32 v114, v114
	v_frexp_exp_i32_f32_e32 v116, v122
	v_sub_u32_e32 v116, 0, v116
	v_frexp_mant_f32_e32 v124, v123
	v_frexp_exp_i32_f32_e32 v125, v123
	v_cvt_f32_f16_e32 v122, v115
	v_cvt_f32_f16_sdwa v123, v115 dst_sel:DWORD dst_unused:UNUSED_PAD src0_sel:WORD_1
	v_ldexp_f32 v114, v114, v116
	v_cvt_f32_f16_e32 v116, v117
	v_cvt_f32_f16_sdwa v117, v117 dst_sel:DWORD dst_unused:UNUSED_PAD src0_sel:WORD_1
	v_pk_add_f32 v[112:113], v[112:113], v[122:123]
	v_rcp_f32_e32 v124, v124
	v_sub_u32_e32 v115, 0, v125
	v_pk_add_f32 v[112:113], v[112:113], v[116:117]
	v_ldexp_f32 v115, v124, v115
	v_mul_f32_e32 v116, 0x3d92220c, v112
	v_fma_f32 v116, -v112, v116, s10
	v_mul_f32_e32 v116, v112, v116
	v_mul_f32_e32 v117, 0x3fb8aa3b, v116
	v_fma_f32 v122, v116, s11, -v117
	v_rndne_f32_e32 v123, v117
	v_fmac_f32_e32 v122, 0x32a5705f, v116
	v_sub_f32_e32 v117, v117, v123
	v_add_f32_e32 v117, v117, v122
	v_exp_f32_e32 v117, v117
	v_cvt_i32_f32_e32 v122, v123
	v_pk_mul_f32 v[110:111], v[110:111], v[114:115]
	v_mul_f32_e32 v114, 0x3d92220c, v113
	v_fma_f32 v114, -v113, v114, s10
	v_mul_f32_e32 v115, v113, v114
	v_mul_f32_e32 v114, 0x3fb8aa3b, v115
	v_cvt_pk_f16_f32 v110, v110, v111
	v_ldexp_f32 v111, v117, v122
	v_fma_f32 v117, v115, s11, -v114
	v_rndne_f32_e32 v122, v114
	v_fmac_f32_e32 v117, 0x32a5705f, v115
	v_sub_f32_e32 v114, v114, v122
	v_add_f32_e32 v114, v114, v117
	v_exp_f32_e32 v117, v114
	v_cvt_i32_f32_e32 v122, v122
	v_cmp_ngt_f32_e32 vcc, s8, v116
	s_nop 1
	v_cndmask_b32_e32 v111, 0, v111, vcc
	v_cmp_nlt_f32_e32 vcc, s9, v116
	s_nop 1
	v_cndmask_b32_e32 v114, v175, v111, vcc
	v_ldexp_f32 v111, v117, v122
	v_cmp_ngt_f32_e32 vcc, s8, v115
	v_add_lshl_u32 v122, v132, s16, 1
	s_nop 0
	v_cndmask_b32_e32 v111, 0, v111, vcc
	v_cmp_nlt_f32_e32 vcc, s9, v115
	s_nop 1
	v_cndmask_b32_e32 v115, v175, v111, vcc
	v_pk_add_f32 v[114:115], v[114:115], 1.0 op_sel_hi:[1,0]
	s_nop 0
	v_frexp_mant_f32_e32 v111, v114
	v_rcp_f32_e32 v111, v111
	v_frexp_mant_f32_e32 v116, v115
	v_frexp_exp_i32_f32_e32 v114, v114
	v_rcp_f32_e32 v116, v116
	v_sub_u32_e32 v114, 0, v114
	v_ldexp_f32 v114, v111, v114
	v_frexp_exp_i32_f32_e32 v111, v115
	v_sub_u32_e32 v111, 0, v111
	v_ldexp_f32 v115, v116, v111
	v_pk_mul_f32 v[112:113], v[112:113], v[114:115]
	s_nop 0
	v_cvt_pk_f16_f32 v111, v112, v113
	buffer_store_dwordx2 v[110:111], v122, s[12:15], 0 offen
	s_waitcnt lgkmcnt(0)
	s_barrier
	ds_write2_b32 v177, v106, v107 offset1:32
	ds_write2_b32 v177, v108, v109 offset0:64 offset1:96
	v_subrev_u32_e32 v106, 64, v127
	s_waitcnt lgkmcnt(0)
	s_barrier
	buffer_load_dwordx2 v[110:111], v106, s[0:3], 0 offen
	v_subrev_u32_e32 v106, 64, v128
	buffer_load_dwordx2 v[112:113], v106, s[4:7], 0 offen
	ds_read_b128 v[106:109], v1
	s_waitcnt vmcnt(1)
	v_cvt_f32_f16_e32 v114, v110
	v_cvt_f32_f16_sdwa v115, v110 dst_sel:DWORD dst_unused:UNUSED_PAD src0_sel:WORD_1
	s_waitcnt vmcnt(0)
	v_cvt_f32_f16_e32 v116, v112
	v_cvt_f32_f16_sdwa v117, v112 dst_sel:DWORD dst_unused:UNUSED_PAD src0_sel:WORD_1
	s_waitcnt lgkmcnt(0)
	v_pk_add_f32 v[106:107], v[106:107], v[114:115]
	s_nop 0
	v_pk_add_f32 v[106:107], v[106:107], v[116:117]
	s_nop 0
	v_mul_f32_e32 v110, 0x3d92220c, v106
	v_fma_f32 v110, -v106, v110, s10
	v_mul_f32_e32 v110, v106, v110
	v_mul_f32_e32 v112, 0x3fb8aa3b, v110
	v_fma_f32 v114, v110, s11, -v112
	v_rndne_f32_e32 v115, v112
	v_fmac_f32_e32 v114, 0x32a5705f, v110
	v_sub_f32_e32 v112, v112, v115
	v_add_f32_e32 v112, v112, v114
	v_exp_f32_e32 v112, v112
	v_cvt_i32_f32_e32 v114, v115
	v_cmp_ngt_f32_e32 vcc, s8, v110
	v_ldexp_f32 v112, v112, v114
	v_mul_f32_e32 v114, 0x3d92220c, v107
	v_fma_f32 v114, -v107, v114, s10
	v_mul_f32_e32 v115, v107, v114
	v_mul_f32_e32 v114, 0x3fb8aa3b, v115
	v_fma_f32 v116, v115, s11, -v114
	v_rndne_f32_e32 v117, v114
	v_fmac_f32_e32 v116, 0x32a5705f, v115
	v_sub_f32_e32 v114, v114, v117
	v_add_f32_e32 v114, v114, v116
	v_exp_f32_e32 v116, v114
	v_cvt_i32_f32_e32 v117, v117
	v_cndmask_b32_e32 v112, 0, v112, vcc
	v_cmp_nlt_f32_e32 vcc, s9, v110
	v_ldexp_f32 v110, v116, v117
	s_nop 0
	v_cndmask_b32_e32 v114, v175, v112, vcc
	v_cmp_ngt_f32_e32 vcc, s8, v115
	s_nop 1
	v_cndmask_b32_e32 v110, 0, v110, vcc
	v_cmp_nlt_f32_e32 vcc, s9, v115
	s_nop 1
	v_cndmask_b32_e32 v115, v175, v110, vcc
	v_pk_add_f32 v[114:115], v[114:115], 1.0 op_sel_hi:[1,0]
	s_nop 0
	v_frexp_mant_f32_e32 v110, v114
	v_rcp_f32_e32 v110, v110
	v_frexp_exp_i32_f32_e32 v112, v114
	v_sub_u32_e32 v112, 0, v112
	v_frexp_mant_f32_e32 v116, v115
	v_frexp_exp_i32_f32_e32 v117, v115
	v_cvt_f32_f16_e32 v114, v111
	v_cvt_f32_f16_sdwa v115, v111 dst_sel:DWORD dst_unused:UNUSED_PAD src0_sel:WORD_1
	v_ldexp_f32 v110, v110, v112
	v_cvt_f32_f16_e32 v112, v113
	v_cvt_f32_f16_sdwa v113, v113 dst_sel:DWORD dst_unused:UNUSED_PAD src0_sel:WORD_1
	v_pk_add_f32 v[108:109], v[108:109], v[114:115]
	v_rcp_f32_e32 v116, v116
	v_sub_u32_e32 v111, 0, v117
	v_pk_add_f32 v[108:109], v[108:109], v[112:113]
	v_ldexp_f32 v111, v116, v111
	v_mul_f32_e32 v112, 0x3d92220c, v108
	v_fma_f32 v112, -v108, v112, s10
	v_mul_f32_e32 v112, v108, v112
	v_mul_f32_e32 v113, 0x3fb8aa3b, v112
	v_fma_f32 v114, v112, s11, -v113
	v_rndne_f32_e32 v115, v113
	v_fmac_f32_e32 v114, 0x32a5705f, v112
	v_sub_f32_e32 v113, v113, v115
	v_add_f32_e32 v113, v113, v114
	v_exp_f32_e32 v113, v113
	v_cvt_i32_f32_e32 v114, v115
	v_pk_mul_f32 v[106:107], v[106:107], v[110:111]
	v_mul_f32_e32 v110, 0x3d92220c, v109
	v_fma_f32 v110, -v109, v110, s10
	v_mul_f32_e32 v111, v109, v110
	v_mul_f32_e32 v110, 0x3fb8aa3b, v111
	v_cvt_pk_f16_f32 v106, v106, v107
	v_ldexp_f32 v107, v113, v114
	v_fma_f32 v113, v111, s11, -v110
	v_rndne_f32_e32 v114, v110
	v_fmac_f32_e32 v113, 0x32a5705f, v111
	v_sub_f32_e32 v110, v110, v114
	v_add_f32_e32 v110, v110, v113
	v_exp_f32_e32 v113, v110
	v_cvt_i32_f32_e32 v114, v114
	v_cmp_ngt_f32_e32 vcc, s8, v112
	s_nop 1
	v_cndmask_b32_e32 v107, 0, v107, vcc
	v_cmp_nlt_f32_e32 vcc, s9, v112
	s_nop 1
	v_cndmask_b32_e32 v110, v175, v107, vcc
	v_ldexp_f32 v107, v113, v114
	v_cmp_ngt_f32_e32 vcc, s8, v111
	s_nop 1
	v_cndmask_b32_e32 v107, 0, v107, vcc
	v_cmp_nlt_f32_e32 vcc, s9, v111
	s_nop 1
	v_cndmask_b32_e32 v111, v175, v107, vcc
	v_pk_add_f32 v[110:111], v[110:111], 1.0 op_sel_hi:[1,0]
	s_nop 0
	v_frexp_mant_f32_e32 v107, v110
	v_rcp_f32_e32 v107, v107
	v_frexp_mant_f32_e32 v112, v111
	v_frexp_exp_i32_f32_e32 v110, v110
	v_rcp_f32_e32 v112, v112
	v_sub_u32_e32 v110, 0, v110
	v_ldexp_f32 v110, v107, v110
	v_frexp_exp_i32_f32_e32 v107, v111
	v_sub_u32_e32 v107, 0, v107
	v_ldexp_f32 v111, v112, v107
	v_pk_mul_f32 v[108:109], v[108:109], v[110:111]
	s_nop 0
	v_cvt_pk_f16_f32 v107, v108, v109
	v_subrev_u32_e32 v108, 64, v122
	buffer_store_dwordx2 v[106:107], v108, s[12:15], 0 offen
	s_waitcnt lgkmcnt(0)
	s_barrier
	ds_write2_b32 v177, v102, v103 offset1:32
	ds_write2_b32 v177, v104, v105 offset0:64 offset1:96
	v_add_u32_e32 v102, 0xffffff80, v127
	s_waitcnt lgkmcnt(0)
	s_barrier
	buffer_load_dwordx2 v[106:107], v102, s[0:3], 0 offen
	v_add_u32_e32 v102, 0xffffff80, v128
	buffer_load_dwordx2 v[108:109], v102, s[4:7], 0 offen
	ds_read_b128 v[102:105], v1
	s_waitcnt vmcnt(1)
	v_cvt_f32_f16_e32 v110, v106
	v_cvt_f32_f16_sdwa v111, v106 dst_sel:DWORD dst_unused:UNUSED_PAD src0_sel:WORD_1
	s_waitcnt vmcnt(0)
	v_cvt_f32_f16_e32 v112, v108
	v_cvt_f32_f16_sdwa v113, v108 dst_sel:DWORD dst_unused:UNUSED_PAD src0_sel:WORD_1
	s_waitcnt lgkmcnt(0)
	v_pk_add_f32 v[102:103], v[102:103], v[110:111]
	s_nop 0
	v_pk_add_f32 v[102:103], v[102:103], v[112:113]
	s_nop 0
	v_mul_f32_e32 v106, 0x3d92220c, v102
	v_fma_f32 v106, -v102, v106, s10
	v_mul_f32_e32 v106, v102, v106
	v_mul_f32_e32 v108, 0x3fb8aa3b, v106
	v_fma_f32 v110, v106, s11, -v108
	v_rndne_f32_e32 v111, v108
	v_fmac_f32_e32 v110, 0x32a5705f, v106
	v_sub_f32_e32 v108, v108, v111
	v_add_f32_e32 v108, v108, v110
	v_exp_f32_e32 v108, v108
	v_cvt_i32_f32_e32 v110, v111
	v_cmp_ngt_f32_e32 vcc, s8, v106
	v_ldexp_f32 v108, v108, v110
	v_mul_f32_e32 v110, 0x3d92220c, v103
	v_fma_f32 v110, -v103, v110, s10
	v_mul_f32_e32 v111, v103, v110
	v_mul_f32_e32 v110, 0x3fb8aa3b, v111
	v_fma_f32 v112, v111, s11, -v110
	v_rndne_f32_e32 v113, v110
	v_fmac_f32_e32 v112, 0x32a5705f, v111
	v_sub_f32_e32 v110, v110, v113
	v_add_f32_e32 v110, v110, v112
	v_exp_f32_e32 v112, v110
	v_cvt_i32_f32_e32 v113, v113
	v_cndmask_b32_e32 v108, 0, v108, vcc
	v_cmp_nlt_f32_e32 vcc, s9, v106
	v_ldexp_f32 v106, v112, v113
	s_nop 0
	v_cndmask_b32_e32 v110, v175, v108, vcc
	v_cmp_ngt_f32_e32 vcc, s8, v111
	s_nop 1
	v_cndmask_b32_e32 v106, 0, v106, vcc
	v_cmp_nlt_f32_e32 vcc, s9, v111
	s_nop 1
	v_cndmask_b32_e32 v111, v175, v106, vcc
	v_pk_add_f32 v[110:111], v[110:111], 1.0 op_sel_hi:[1,0]
	s_nop 0
	v_frexp_mant_f32_e32 v106, v110
	v_rcp_f32_e32 v106, v106
	v_frexp_exp_i32_f32_e32 v108, v110
	v_sub_u32_e32 v108, 0, v108
	v_frexp_mant_f32_e32 v112, v111
	v_frexp_exp_i32_f32_e32 v113, v111
	v_cvt_f32_f16_e32 v110, v107
	v_cvt_f32_f16_sdwa v111, v107 dst_sel:DWORD dst_unused:UNUSED_PAD src0_sel:WORD_1
	v_ldexp_f32 v106, v106, v108
	v_cvt_f32_f16_e32 v108, v109
	v_cvt_f32_f16_sdwa v109, v109 dst_sel:DWORD dst_unused:UNUSED_PAD src0_sel:WORD_1
	v_pk_add_f32 v[104:105], v[104:105], v[110:111]
	v_rcp_f32_e32 v112, v112
	v_sub_u32_e32 v107, 0, v113
	v_pk_add_f32 v[104:105], v[104:105], v[108:109]
	v_ldexp_f32 v107, v112, v107
	v_mul_f32_e32 v108, 0x3d92220c, v104
	v_fma_f32 v108, -v104, v108, s10
	v_mul_f32_e32 v108, v104, v108
	v_mul_f32_e32 v109, 0x3fb8aa3b, v108
	v_fma_f32 v110, v108, s11, -v109
	v_rndne_f32_e32 v111, v109
	v_fmac_f32_e32 v110, 0x32a5705f, v108
	v_sub_f32_e32 v109, v109, v111
	v_add_f32_e32 v109, v109, v110
	v_exp_f32_e32 v109, v109
	v_cvt_i32_f32_e32 v110, v111
	v_pk_mul_f32 v[102:103], v[102:103], v[106:107]
	v_mul_f32_e32 v106, 0x3d92220c, v105
	v_fma_f32 v106, -v105, v106, s10
	v_mul_f32_e32 v107, v105, v106
	v_mul_f32_e32 v106, 0x3fb8aa3b, v107
	v_cvt_pk_f16_f32 v102, v102, v103
	v_ldexp_f32 v103, v109, v110
	v_fma_f32 v109, v107, s11, -v106
	v_rndne_f32_e32 v110, v106
	v_fmac_f32_e32 v109, 0x32a5705f, v107
	v_sub_f32_e32 v106, v106, v110
	v_add_f32_e32 v106, v106, v109
	v_exp_f32_e32 v109, v106
	v_cvt_i32_f32_e32 v110, v110
	v_cmp_ngt_f32_e32 vcc, s8, v108
	s_nop 1
	v_cndmask_b32_e32 v103, 0, v103, vcc
	v_cmp_nlt_f32_e32 vcc, s9, v108
	s_nop 1
	v_cndmask_b32_e32 v106, v175, v103, vcc
	v_ldexp_f32 v103, v109, v110
	v_cmp_ngt_f32_e32 vcc, s8, v107
	v_add_u32_e32 v110, s17, v130
	s_nop 0
	v_cndmask_b32_e32 v103, 0, v103, vcc
	v_cmp_nlt_f32_e32 vcc, s9, v107
	s_nop 1
	v_cndmask_b32_e32 v107, v175, v103, vcc
	v_pk_add_f32 v[106:107], v[106:107], 1.0 op_sel_hi:[1,0]
	s_nop 0
	v_frexp_mant_f32_e32 v103, v106
	v_rcp_f32_e32 v103, v103
	v_frexp_mant_f32_e32 v108, v107
	v_frexp_exp_i32_f32_e32 v106, v106
	v_rcp_f32_e32 v108, v108
	v_sub_u32_e32 v106, 0, v106
	v_ldexp_f32 v106, v103, v106
	v_frexp_exp_i32_f32_e32 v103, v107
	v_sub_u32_e32 v103, 0, v103
	v_ldexp_f32 v107, v108, v103
	v_pk_mul_f32 v[104:105], v[104:105], v[106:107]
	s_nop 0
	v_cvt_pk_f16_f32 v103, v104, v105
	v_add_u32_e32 v104, 0xffffff80, v122
	buffer_store_dwordx2 v[102:103], v104, s[12:15], 0 offen
	s_waitcnt lgkmcnt(0)
	s_barrier
	ds_write2_b32 v177, v94, v95 offset1:32
	ds_write2_b32 v177, v96, v97 offset0:64 offset1:96
	v_lshlrev_b32_e32 v94, 1, v0
	s_waitcnt lgkmcnt(0)
	s_barrier
	buffer_load_dwordx2 v[102:103], v94, s[0:3], 0 offen
	v_lshlrev_b32_e32 v94, 1, v110
	buffer_load_dwordx2 v[104:105], v94, s[4:7], 0 offen
	ds_read_b128 v[94:97], v1
	v_add_u32_e32 v0, s18, v0
	s_waitcnt vmcnt(1)
	v_cvt_f32_f16_e32 v106, v102
	v_cvt_f32_f16_sdwa v107, v102 dst_sel:DWORD dst_unused:UNUSED_PAD src0_sel:WORD_1
	s_waitcnt vmcnt(0)
	v_cvt_f32_f16_e32 v108, v104
	v_cvt_f32_f16_sdwa v109, v104 dst_sel:DWORD dst_unused:UNUSED_PAD src0_sel:WORD_1
	s_waitcnt lgkmcnt(0)
	v_pk_add_f32 v[94:95], v[94:95], v[106:107]
	s_nop 0
	v_pk_add_f32 v[106:107], v[94:95], v[108:109]
	s_nop 0
	v_mul_f32_e32 v94, 0x3d92220c, v106
	v_fma_f32 v94, -v106, v94, s10
	v_mul_f32_e32 v102, v106, v94
	v_mul_f32_e32 v94, 0x3fb8aa3b, v102
	v_fma_f32 v95, v102, s11, -v94
	v_rndne_f32_e32 v104, v94
	v_fmac_f32_e32 v95, 0x32a5705f, v102
	v_sub_f32_e32 v94, v94, v104
	v_add_f32_e32 v94, v94, v95
	v_exp_f32_e32 v108, v94
	v_cvt_i32_f32_e32 v104, v104
	v_mfma_f32_16x16x32_f16 v[92:95], v[98:101], v[22:25], v[90:93]
	v_cmp_ngt_f32_e32 vcc, s8, v102
	s_nop 1
	v_mul_f32_e32 v91, 0x3d92220c, v107
	v_fma_f32 v91, -v107, v91, s10
	v_mul_f32_e32 v91, v107, v91
	v_ldexp_f32 v90, v108, v104
	v_mul_f32_e32 v104, 0x3fb8aa3b, v91
	v_fma_f32 v108, v91, s11, -v104
	v_rndne_f32_e32 v109, v104
	v_fmac_f32_e32 v108, 0x32a5705f, v91
	v_sub_f32_e32 v104, v104, v109
	v_add_f32_e32 v104, v104, v108
	v_exp_f32_e32 v104, v104
	v_cvt_i32_f32_e32 v108, v109
	v_cndmask_b32_e32 v90, 0, v90, vcc
	v_cmp_nlt_f32_e32 vcc, s9, v102
	v_ldexp_f32 v102, v104, v108
	s_nop 0
	v_cndmask_b32_e32 v90, v175, v90, vcc
	v_cmp_ngt_f32_e32 vcc, s8, v91
	v_cvt_f32_f16_e32 v104, v105
	v_cvt_f32_f16_sdwa v105, v105 dst_sel:DWORD dst_unused:UNUSED_PAD src0_sel:WORD_1
	v_cndmask_b32_e32 v102, 0, v102, vcc
	v_cmp_nlt_f32_e32 vcc, s9, v91
	v_add_u32_e32 v108, s16, v126
	s_nop 0
	v_cndmask_b32_e32 v91, v175, v102, vcc
	v_pk_add_f32 v[90:91], v[90:91], 1.0 op_sel_hi:[1,0]
	s_nop 0
	v_frexp_mant_f32_e32 v102, v90
	v_rcp_f32_e32 v102, v102
	v_frexp_exp_i32_f32_e32 v90, v90
	v_sub_u32_e32 v90, 0, v90
	v_frexp_mant_f32_e32 v109, v91
	v_ldexp_f32 v90, v102, v90
	v_cvt_f32_f16_e32 v102, v103
	v_cvt_f32_f16_sdwa v103, v103 dst_sel:DWORD dst_unused:UNUSED_PAD src0_sel:WORD_1
	v_rcp_f32_e32 v109, v109
	v_frexp_exp_i32_f32_e32 v91, v91
	v_sub_u32_e32 v91, 0, v91
	v_pk_add_f32 v[96:97], v[96:97], v[102:103]
	v_ldexp_f32 v91, v109, v91
	v_pk_add_f32 v[96:97], v[96:97], v[104:105]
	v_pk_mul_f32 v[90:91], v[106:107], v[90:91]
	v_mul_f32_e32 v102, 0x3d92220c, v96
	v_fma_f32 v102, -v96, v102, s10
	v_mul_f32_e32 v102, v96, v102
	v_mul_f32_e32 v103, 0x3fb8aa3b, v102
	v_fma_f32 v104, v102, s11, -v103
	v_rndne_f32_e32 v105, v103
	v_fmac_f32_e32 v104, 0x32a5705f, v102
	v_sub_f32_e32 v103, v103, v105
	v_add_f32_e32 v103, v103, v104
	v_exp_f32_e32 v103, v103
	v_cvt_i32_f32_e32 v104, v105
	v_cvt_pk_f16_f32 v90, v90, v91
	v_cmp_ngt_f32_e32 vcc, s8, v102
	v_ldexp_f32 v91, v103, v104
	v_mul_f32_e32 v103, 0x3d92220c, v97
	v_fma_f32 v103, -v97, v103, s10
	v_mul_f32_e32 v103, v97, v103
	v_mul_f32_e32 v104, 0x3fb8aa3b, v103
	v_fma_f32 v105, v103, s11, -v104
	v_rndne_f32_e32 v106, v104
	v_fmac_f32_e32 v105, 0x32a5705f, v103
	v_sub_f32_e32 v104, v104, v106
	v_add_f32_e32 v104, v104, v105
	v_exp_f32_e32 v104, v104
	v_cvt_i32_f32_e32 v105, v106
	v_cndmask_b32_e32 v91, 0, v91, vcc
	v_cmp_nlt_f32_e32 vcc, s9, v102
	s_nop 1
	v_cndmask_b32_e32 v102, v175, v91, vcc
	v_ldexp_f32 v91, v104, v105
	v_cmp_ngt_f32_e32 vcc, s8, v103
	s_nop 1
	v_cndmask_b32_e32 v91, 0, v91, vcc
	v_cmp_nlt_f32_e32 vcc, s9, v103
	s_nop 1
	v_cndmask_b32_e32 v103, v175, v91, vcc
	v_pk_add_f32 v[102:103], v[102:103], 1.0 op_sel_hi:[1,0]
	s_nop 0
	v_frexp_mant_f32_e32 v91, v102
	v_rcp_f32_e32 v91, v91
	v_frexp_mant_f32_e32 v104, v103
	v_frexp_exp_i32_f32_e32 v102, v102
	v_rcp_f32_e32 v104, v104
	v_sub_u32_e32 v102, 0, v102
	v_ldexp_f32 v102, v91, v102
	v_frexp_exp_i32_f32_e32 v91, v103
	v_sub_u32_e32 v91, 0, v91
	v_ldexp_f32 v103, v104, v91
	v_pk_mul_f32 v[96:97], v[96:97], v[102:103]
	s_nop 0
	v_cvt_pk_f16_f32 v91, v96, v97
	v_lshlrev_b32_e32 v96, 1, v108
	buffer_store_dwordx2 v[90:91], v96, s[12:15], 0 offen
	v_add_u32_e32 v90, s17, v110
	v_lshlrev_b32_e32 v91, 1, v0
	s_waitcnt lgkmcnt(0)
	s_barrier
	ds_write2_b32 v177, v92, v93 offset1:32
	ds_write2_b32 v177, v94, v95 offset0:64 offset1:96
	s_waitcnt lgkmcnt(0)
	s_barrier
	buffer_load_dwordx2 v[96:97], v91, s[0:3], 0 offen
	v_lshlrev_b32_e32 v109, 1, v90
	buffer_load_dwordx2 v[106:107], v109, s[4:7], 0 offen
	ds_read_b128 v[92:95], v1
	s_waitcnt vmcnt(1)
	v_cvt_f32_f16_e32 v102, v96
	v_cvt_f32_f16_sdwa v103, v96 dst_sel:DWORD dst_unused:UNUSED_PAD src0_sel:WORD_1
	s_waitcnt vmcnt(0)
	v_cvt_f32_f16_e32 v104, v106
	v_cvt_f32_f16_sdwa v105, v106 dst_sel:DWORD dst_unused:UNUSED_PAD src0_sel:WORD_1
	s_waitcnt lgkmcnt(0)
	v_pk_add_f32 v[92:93], v[92:93], v[102:103]
	s_nop 0
	v_pk_add_f32 v[92:93], v[92:93], v[104:105]
	s_nop 0
	v_mul_f32_e32 v96, 0x3d92220c, v92
	v_fma_f32 v96, -v92, v96, s10
	v_mul_f32_e32 v96, v92, v96
	v_mul_f32_e32 v102, 0x3fb8aa3b, v96
	v_fma_f32 v103, v96, s11, -v102
	v_rndne_f32_e32 v104, v102
	v_fmac_f32_e32 v103, 0x32a5705f, v96
	v_sub_f32_e32 v102, v102, v104
	v_add_f32_e32 v102, v102, v103
	v_exp_f32_e32 v106, v102
	v_cvt_i32_f32_e32 v110, v104
	v_mfma_f32_16x16x32_f16 v[102:105], v[98:101], v[34:37], v[86:89]
	v_cmp_ngt_f32_e32 vcc, s8, v96
	s_nop 1
	v_mul_f32_e32 v87, 0x3d92220c, v93
	v_fma_f32 v87, -v93, v87, s10
	v_mul_f32_e32 v87, v93, v87
	v_mul_f32_e32 v88, 0x3fb8aa3b, v87
	v_ldexp_f32 v86, v106, v110
	v_fma_f32 v89, v87, s11, -v88
	v_rndne_f32_e32 v106, v88
	v_fmac_f32_e32 v89, 0x32a5705f, v87
	v_sub_f32_e32 v88, v88, v106
	v_add_f32_e32 v88, v88, v89
	v_exp_f32_e32 v88, v88
	v_cvt_i32_f32_e32 v89, v106
	v_cndmask_b32_e32 v86, 0, v86, vcc
	v_cmp_nlt_f32_e32 vcc, s9, v96
	v_cvt_f32_f16_e32 v96, v97
	v_ldexp_f32 v88, v88, v89
	v_cndmask_b32_e32 v86, v175, v86, vcc
	v_cmp_ngt_f32_e32 vcc, s8, v87
	v_cvt_f32_f16_sdwa v97, v97 dst_sel:DWORD dst_unused:UNUSED_PAD src0_sel:WORD_1
	v_cvt_f32_f16_e32 v106, v107
	v_cndmask_b32_e32 v88, 0, v88, vcc
	v_cmp_nlt_f32_e32 vcc, s9, v87
	v_cvt_f32_f16_sdwa v107, v107 dst_sel:DWORD dst_unused:UNUSED_PAD src0_sel:WORD_1
	v_pk_add_f32 v[94:95], v[94:95], v[96:97]
	v_cndmask_b32_e32 v87, v175, v88, vcc
	v_pk_add_f32 v[88:89], v[86:87], 1.0 op_sel_hi:[1,0]
	v_pk_add_f32 v[94:95], v[94:95], v[106:107]
	v_frexp_mant_f32_e32 v86, v88
	v_rcp_f32_e32 v87, v86
	v_frexp_exp_i32_f32_e32 v88, v88
	v_sub_u32_e32 v88, 0, v88
	v_mul_f32_e32 v96, 0x3d92220c, v94
	v_ldexp_f32 v88, v87, v88
	v_frexp_mant_f32_e32 v87, v89
	v_rcp_f32_e32 v87, v87
	v_fma_f32 v96, -v94, v96, s10
	v_mul_f32_e32 v96, v94, v96
	v_frexp_exp_i32_f32_e32 v89, v89
	v_mul_f32_e32 v97, 0x3fb8aa3b, v96
	v_sub_u32_e32 v89, 0, v89
	v_fma_f32 v106, v96, s11, -v97
	v_rndne_f32_e32 v107, v97
	v_fmac_f32_e32 v106, 0x32a5705f, v96
	v_sub_f32_e32 v97, v97, v107
	v_ldexp_f32 v89, v87, v89
	v_add_f32_e32 v97, v97, v106
	v_pk_mul_f32 v[88:89], v[92:93], v[88:89]
	v_exp_f32_e32 v97, v97
	v_cvt_i32_f32_e32 v106, v107
	v_cvt_pk_f16_f32 v88, v88, v89
	v_mul_f32_e32 v89, 0x3d92220c, v95
	v_fma_f32 v89, -v95, v89, s10
	v_mul_f32_e32 v89, v95, v89
	v_mul_f32_e32 v92, 0x3fb8aa3b, v89
	v_ldexp_f32 v87, v97, v106
	v_fma_f32 v93, v89, s11, -v92
	v_rndne_f32_e32 v97, v92
	v_fmac_f32_e32 v93, 0x32a5705f, v89
	v_sub_f32_e32 v92, v92, v97
	v_add_f32_e32 v92, v92, v93
	v_exp_f32_e32 v93, v92
	v_cvt_i32_f32_e32 v97, v97
	v_cmp_ngt_f32_e32 vcc, s8, v96
	v_add_u32_e32 v86, s16, v108
	s_nop 0
	v_cndmask_b32_e32 v87, 0, v87, vcc
	v_cmp_nlt_f32_e32 vcc, s9, v96
	s_nop 1
	v_cndmask_b32_e32 v92, v175, v87, vcc
	v_ldexp_f32 v87, v93, v97
	v_cmp_ngt_f32_e32 vcc, s8, v89
	s_nop 1
	v_cndmask_b32_e32 v87, 0, v87, vcc
	v_cmp_nlt_f32_e32 vcc, s9, v89
	s_nop 1
	v_cndmask_b32_e32 v93, v175, v87, vcc
	v_pk_add_f32 v[92:93], v[92:93], 1.0 op_sel_hi:[1,0]
	s_nop 0
	v_frexp_mant_f32_e32 v87, v92
	v_rcp_f32_e32 v87, v87
	v_frexp_exp_i32_f32_e32 v89, v92
	v_frexp_mant_f32_e32 v92, v93
	v_rcp_f32_e32 v96, v92
	v_sub_u32_e32 v89, 0, v89
	v_ldexp_f32 v92, v87, v89
	v_frexp_exp_i32_f32_e32 v87, v93
	v_sub_u32_e32 v87, 0, v87
	v_ldexp_f32 v93, v96, v87
	v_pk_mul_f32 v[92:93], v[94:95], v[92:93]
	v_lshlrev_b32_e32 v87, 1, v86
	v_cvt_pk_f16_f32 v89, v92, v93
	buffer_store_dwordx2 v[88:89], v87, s[12:15], 0 offen
	s_waitcnt lgkmcnt(0)
	s_barrier
	ds_write2_b32 v177, v102, v103 offset1:32
	ds_write2_b32 v177, v104, v105 offset0:64 offset1:96
	s_waitcnt lgkmcnt(0)
	s_barrier
	buffer_load_dwordx2 v[88:89], v91, s[0:3], 0 offen offset:64
	buffer_load_dwordx2 v[96:97], v109, s[4:7], 0 offen offset:64
	ds_read_b128 v[92:95], v1
	s_waitcnt vmcnt(1)
	v_cvt_f32_f16_e32 v102, v88
	v_cvt_f32_f16_sdwa v103, v88 dst_sel:DWORD dst_unused:UNUSED_PAD src0_sel:WORD_1
	s_waitcnt vmcnt(0)
	v_cvt_f32_f16_e32 v104, v96
	v_cvt_f32_f16_sdwa v105, v96 dst_sel:DWORD dst_unused:UNUSED_PAD src0_sel:WORD_1
	s_waitcnt lgkmcnt(0)
	v_pk_add_f32 v[92:93], v[92:93], v[102:103]
	s_nop 0
	v_pk_add_f32 v[92:93], v[92:93], v[104:105]
	s_nop 0
	v_mul_f32_e32 v88, 0x3d92220c, v92
	v_fma_f32 v88, -v92, v88, s10
	v_mul_f32_e32 v88, v92, v88
	v_mul_f32_e32 v96, 0x3fb8aa3b, v88
	v_fma_f32 v102, v88, s11, -v96
	v_rndne_f32_e32 v103, v96
	v_fmac_f32_e32 v102, 0x32a5705f, v88
	v_sub_f32_e32 v96, v96, v103
	v_add_f32_e32 v96, v96, v102
	v_exp_f32_e32 v96, v96
	v_cvt_i32_f32_e32 v102, v103
	v_cmp_ngt_f32_e32 vcc, s8, v88
	v_ldexp_f32 v96, v96, v102
	v_mul_f32_e32 v102, 0x3d92220c, v93
	v_fma_f32 v102, -v93, v102, s10
	v_mul_f32_e32 v103, v93, v102
	v_mul_f32_e32 v102, 0x3fb8aa3b, v103
	v_fma_f32 v104, v103, s11, -v102
	v_rndne_f32_e32 v105, v102
	v_fmac_f32_e32 v104, 0x32a5705f, v103
	v_sub_f32_e32 v102, v102, v105
	v_add_f32_e32 v102, v102, v104
	v_exp_f32_e32 v104, v102
	v_cvt_i32_f32_e32 v105, v105
	v_cndmask_b32_e32 v96, 0, v96, vcc
	v_cmp_nlt_f32_e32 vcc, s9, v88
	v_ldexp_f32 v88, v104, v105
	s_nop 0
	v_cndmask_b32_e32 v102, v175, v96, vcc
	v_cmp_ngt_f32_e32 vcc, s8, v103
	s_nop 1
	v_cndmask_b32_e32 v88, 0, v88, vcc
	v_cmp_nlt_f32_e32 vcc, s9, v103
	s_nop 1
	v_cndmask_b32_e32 v103, v175, v88, vcc
	v_pk_add_f32 v[102:103], v[102:103], 1.0 op_sel_hi:[1,0]
	s_nop 0
	v_frexp_mant_f32_e32 v88, v102
	v_rcp_f32_e32 v88, v88
	v_frexp_exp_i32_f32_e32 v96, v102
	v_sub_u32_e32 v96, 0, v96
	v_frexp_mant_f32_e32 v104, v103
	v_frexp_exp_i32_f32_e32 v105, v103
	v_cvt_f32_f16_e32 v102, v89
	v_cvt_f32_f16_sdwa v103, v89 dst_sel:DWORD dst_unused:UNUSED_PAD src0_sel:WORD_1
	v_ldexp_f32 v88, v88, v96
	v_cvt_f32_f16_e32 v96, v97
	v_cvt_f32_f16_sdwa v97, v97 dst_sel:DWORD dst_unused:UNUSED_PAD src0_sel:WORD_1
	v_pk_add_f32 v[94:95], v[94:95], v[102:103]
	v_rcp_f32_e32 v104, v104
	v_sub_u32_e32 v89, 0, v105
	v_pk_add_f32 v[94:95], v[94:95], v[96:97]
	v_ldexp_f32 v89, v104, v89
	v_mul_f32_e32 v96, 0x3d92220c, v94
	v_fma_f32 v96, -v94, v96, s10
	v_mul_f32_e32 v96, v94, v96
	v_mul_f32_e32 v97, 0x3fb8aa3b, v96
	v_fma_f32 v102, v96, s11, -v97
	v_rndne_f32_e32 v103, v97
	v_fmac_f32_e32 v102, 0x32a5705f, v96
	v_sub_f32_e32 v97, v97, v103
	v_add_f32_e32 v97, v97, v102
	v_exp_f32_e32 v97, v97
	v_cvt_i32_f32_e32 v102, v103
	v_pk_mul_f32 v[88:89], v[92:93], v[88:89]
	v_mul_f32_e32 v92, 0x3d92220c, v95
	v_fma_f32 v92, -v95, v92, s10
	v_mul_f32_e32 v93, v95, v92
	v_mul_f32_e32 v92, 0x3fb8aa3b, v93
	v_cvt_pk_f16_f32 v88, v88, v89
	v_ldexp_f32 v89, v97, v102
	v_fma_f32 v97, v93, s11, -v92
	v_rndne_f32_e32 v102, v92
	v_fmac_f32_e32 v97, 0x32a5705f, v93
	v_sub_f32_e32 v92, v92, v102
	v_add_f32_e32 v92, v92, v97
	v_exp_f32_e32 v97, v92
	v_cvt_i32_f32_e32 v102, v102
	v_cmp_ngt_f32_e32 vcc, s8, v96
	s_nop 1
	v_cndmask_b32_e32 v89, 0, v89, vcc
	v_cmp_nlt_f32_e32 vcc, s9, v96
	s_nop 1
	v_cndmask_b32_e32 v92, v175, v89, vcc
	v_ldexp_f32 v89, v97, v102
	v_cmp_ngt_f32_e32 vcc, s8, v93
	s_nop 1
	v_cndmask_b32_e32 v89, 0, v89, vcc
	v_cmp_nlt_f32_e32 vcc, s9, v93
	s_nop 1
	v_cndmask_b32_e32 v93, v175, v89, vcc
	v_pk_add_f32 v[92:93], v[92:93], 1.0 op_sel_hi:[1,0]
	s_nop 0
	v_frexp_mant_f32_e32 v89, v92
	v_rcp_f32_e32 v89, v89
	v_frexp_mant_f32_e32 v96, v93
	v_frexp_exp_i32_f32_e32 v92, v92
	v_rcp_f32_e32 v96, v96
	v_sub_u32_e32 v92, 0, v92
	v_ldexp_f32 v92, v89, v92
	v_frexp_exp_i32_f32_e32 v89, v93
	v_sub_u32_e32 v89, 0, v89
	v_ldexp_f32 v93, v96, v89
	v_pk_mul_f32 v[92:93], v[94:95], v[92:93]
	s_nop 0
	v_cvt_pk_f16_f32 v89, v92, v93
	buffer_store_dwordx2 v[88:89], v87, s[12:15], 0 offen offset:64
	s_waitcnt lgkmcnt(0)
	s_barrier
	ds_write2_b32 v177, v82, v83 offset1:32
	ds_write2_b32 v177, v84, v85 offset0:64 offset1:96
	s_waitcnt lgkmcnt(0)
	s_barrier
	buffer_load_dwordx2 v[88:89], v91, s[0:3], 0 offen offset:128
	buffer_load_dwordx2 v[92:93], v109, s[4:7], 0 offen offset:128
	ds_read_b128 v[82:85], v1
	s_waitcnt vmcnt(1)
	v_cvt_f32_f16_e32 v94, v88
	v_cvt_f32_f16_sdwa v95, v88 dst_sel:DWORD dst_unused:UNUSED_PAD src0_sel:WORD_1
	s_waitcnt vmcnt(0)
	v_cvt_f32_f16_e32 v96, v92
	v_cvt_f32_f16_sdwa v97, v92 dst_sel:DWORD dst_unused:UNUSED_PAD src0_sel:WORD_1
	s_waitcnt lgkmcnt(0)
	v_pk_add_f32 v[82:83], v[82:83], v[94:95]
	s_nop 0
	v_pk_add_f32 v[82:83], v[82:83], v[96:97]
	s_nop 0
	v_mul_f32_e32 v88, 0x3d92220c, v82
	v_fma_f32 v88, -v82, v88, s10
	v_mul_f32_e32 v88, v82, v88
	v_mul_f32_e32 v91, 0x3fb8aa3b, v88
	v_fma_f32 v92, v88, s11, -v91
	v_rndne_f32_e32 v94, v91
	v_fmac_f32_e32 v92, 0x32a5705f, v88
	v_sub_f32_e32 v91, v91, v94
	v_add_f32_e32 v91, v91, v92
	v_exp_f32_e32 v91, v91
	v_cvt_i32_f32_e32 v92, v94
	v_cmp_ngt_f32_e32 vcc, s8, v88
	v_ldexp_f32 v91, v91, v92
	v_mul_f32_e32 v92, 0x3d92220c, v83
	v_fma_f32 v92, -v83, v92, s10
	v_mul_f32_e32 v92, v83, v92
	v_mul_f32_e32 v94, 0x3fb8aa3b, v92
	v_fma_f32 v95, v92, s11, -v94
	v_rndne_f32_e32 v96, v94
	v_fmac_f32_e32 v95, 0x32a5705f, v92
	v_sub_f32_e32 v94, v94, v96
	v_add_f32_e32 v94, v94, v95
	v_exp_f32_e32 v95, v94
	v_cvt_i32_f32_e32 v96, v96
	v_cndmask_b32_e32 v91, 0, v91, vcc
	v_cmp_nlt_f32_e32 vcc, s9, v88
	v_ldexp_f32 v88, v95, v96
	s_nop 0
	v_cndmask_b32_e32 v94, v175, v91, vcc
	v_cmp_ngt_f32_e32 vcc, s8, v92
	s_nop 1
	v_cndmask_b32_e32 v88, 0, v88, vcc
	v_cmp_nlt_f32_e32 vcc, s9, v92
	v_cvt_f32_f16_e32 v92, v93
	v_cvt_f32_f16_sdwa v93, v93 dst_sel:DWORD dst_unused:UNUSED_PAD src0_sel:WORD_1
	v_cndmask_b32_e32 v95, v175, v88, vcc
	v_pk_add_f32 v[94:95], v[94:95], 1.0 op_sel_hi:[1,0]
	s_nop 0
	v_frexp_mant_f32_e32 v88, v94
	v_rcp_f32_e32 v88, v88
	v_frexp_exp_i32_f32_e32 v91, v94
	v_sub_u32_e32 v91, 0, v91
	v_frexp_exp_i32_f32_e32 v96, v95
	v_ldexp_f32 v88, v88, v91
	v_frexp_mant_f32_e32 v91, v95
	v_cvt_f32_f16_e32 v94, v89
	v_cvt_f32_f16_sdwa v95, v89 dst_sel:DWORD dst_unused:UNUSED_PAD src0_sel:WORD_1
	v_rcp_f32_e32 v91, v91
	v_sub_u32_e32 v89, 0, v96
	v_pk_add_f32 v[84:85], v[84:85], v[94:95]
	s_nop 0
	v_pk_add_f32 v[84:85], v[84:85], v[92:93]
	v_ldexp_f32 v89, v91, v89
	v_mul_f32_e32 v92, 0x3d92220c, v84
	v_fma_f32 v92, -v84, v92, s10
	v_mul_f32_e32 v92, v84, v92
	v_mul_f32_e32 v93, 0x3fb8aa3b, v92
	v_fma_f32 v94, v92, s11, -v93
	v_rndne_f32_e32 v95, v93
	v_fmac_f32_e32 v94, 0x32a5705f, v92
	v_sub_f32_e32 v93, v93, v95
	v_add_f32_e32 v93, v93, v94
	v_exp_f32_e32 v93, v93
	v_cvt_i32_f32_e32 v94, v95
	v_pk_mul_f32 v[82:83], v[82:83], v[88:89]
	v_mul_f32_e32 v88, 0x3d92220c, v85
	v_fma_f32 v88, -v85, v88, s10
	v_mul_f32_e32 v89, v85, v88
	v_mul_f32_e32 v88, 0x3fb8aa3b, v89
	v_cvt_pk_f16_f32 v82, v82, v83
	v_ldexp_f32 v83, v93, v94
	v_fma_f32 v91, v89, s11, -v88
	v_rndne_f32_e32 v93, v88
	v_fmac_f32_e32 v91, 0x32a5705f, v89
	v_sub_f32_e32 v88, v88, v93
	v_add_f32_e32 v88, v88, v91
	v_exp_f32_e32 v91, v88
	v_cvt_i32_f32_e32 v93, v93
	v_cmp_ngt_f32_e32 vcc, s8, v92
	s_nop 1
	v_cndmask_b32_e32 v83, 0, v83, vcc
	v_cmp_nlt_f32_e32 vcc, s9, v92
	s_nop 1
	v_cndmask_b32_e32 v88, v175, v83, vcc
	v_ldexp_f32 v83, v91, v93
	v_cmp_ngt_f32_e32 vcc, s8, v89
	s_nop 1
	v_cndmask_b32_e32 v83, 0, v83, vcc
	v_cmp_nlt_f32_e32 vcc, s9, v89
	s_nop 1
	v_cndmask_b32_e32 v89, v175, v83, vcc
	v_pk_add_f32 v[88:89], v[88:89], 1.0 op_sel_hi:[1,0]
	s_nop 0
	v_frexp_mant_f32_e32 v83, v88
	v_rcp_f32_e32 v83, v83
	v_frexp_mant_f32_e32 v91, v89
	v_frexp_exp_i32_f32_e32 v88, v88
	v_rcp_f32_e32 v91, v91
	v_sub_u32_e32 v88, 0, v88
	v_ldexp_f32 v88, v83, v88
	v_frexp_exp_i32_f32_e32 v83, v89
	v_sub_u32_e32 v83, 0, v83
	v_ldexp_f32 v89, v91, v83
	v_pk_mul_f32 v[84:85], v[84:85], v[88:89]
	v_add_u32_e32 v91, 0x60, v90
	v_cvt_pk_f16_f32 v83, v84, v85
	buffer_store_dwordx2 v[82:83], v87, s[12:15], 0 offen offset:128
	v_add_u32_e32 v87, 0x60, v0
	s_waitcnt lgkmcnt(0)
	s_barrier
	ds_write2_b32 v177, v74, v75 offset1:32
	ds_write2_b32 v177, v76, v77 offset0:64 offset1:96
	v_lshlrev_b32_e32 v74, 1, v87
	s_waitcnt lgkmcnt(0)
	s_barrier
	buffer_load_dwordx2 v[82:83], v74, s[0:3], 0 offen
	v_lshlrev_b32_e32 v74, 1, v91
	buffer_load_dwordx2 v[84:85], v74, s[4:7], 0 offen
	ds_read_b128 v[74:77], v1
	v_add_lshl_u32 v87, v87, s18, 1
	v_add_u32_e32 v0, s18, v0
	s_waitcnt vmcnt(1)
	v_cvt_f32_f16_e32 v88, v82
	v_cvt_f32_f16_sdwa v89, v82 dst_sel:DWORD dst_unused:UNUSED_PAD src0_sel:WORD_1
	s_waitcnt vmcnt(0)
	v_cvt_f32_f16_e32 v92, v84
	v_cvt_f32_f16_sdwa v93, v84 dst_sel:DWORD dst_unused:UNUSED_PAD src0_sel:WORD_1
	s_waitcnt lgkmcnt(0)
	v_pk_add_f32 v[74:75], v[74:75], v[88:89]
	s_nop 0
	v_pk_add_f32 v[74:75], v[74:75], v[92:93]
	s_nop 0
	v_mul_f32_e32 v82, 0x3d92220c, v74
	v_fma_f32 v82, -v74, v82, s10
	v_mul_f32_e32 v82, v74, v82
	v_mul_f32_e32 v84, 0x3fb8aa3b, v82
	v_fma_f32 v88, v82, s11, -v84
	v_rndne_f32_e32 v89, v84
	v_fmac_f32_e32 v88, 0x32a5705f, v82
	v_sub_f32_e32 v84, v84, v89
	v_add_f32_e32 v84, v84, v88
	v_exp_f32_e32 v84, v84
	v_cvt_i32_f32_e32 v88, v89
	v_cmp_ngt_f32_e32 vcc, s8, v82
	v_ldexp_f32 v84, v84, v88
	v_mul_f32_e32 v88, 0x3d92220c, v75
	v_fma_f32 v88, -v75, v88, s10
	v_mul_f32_e32 v89, v75, v88
	v_mul_f32_e32 v88, 0x3fb8aa3b, v89
	v_fma_f32 v92, v89, s11, -v88
	v_rndne_f32_e32 v93, v88
	v_fmac_f32_e32 v92, 0x32a5705f, v89
	v_sub_f32_e32 v88, v88, v93
	v_add_f32_e32 v88, v88, v92
	v_exp_f32_e32 v92, v88
	v_cvt_i32_f32_e32 v93, v93
	v_cndmask_b32_e32 v84, 0, v84, vcc
	v_cmp_nlt_f32_e32 vcc, s9, v82
	v_ldexp_f32 v82, v92, v93
	s_nop 0
	v_cndmask_b32_e32 v88, v175, v84, vcc
	v_cmp_ngt_f32_e32 vcc, s8, v89
	v_add_u32_e32 v92, 0x60, v86
	s_nop 0
	v_cndmask_b32_e32 v82, 0, v82, vcc
	v_cmp_nlt_f32_e32 vcc, s9, v89
	s_nop 1
	v_cndmask_b32_e32 v89, v175, v82, vcc
	v_pk_add_f32 v[88:89], v[88:89], 1.0 op_sel_hi:[1,0]
	s_nop 0
	v_frexp_mant_f32_e32 v82, v88
	v_rcp_f32_e32 v82, v82
	v_frexp_exp_i32_f32_e32 v84, v88
	v_sub_u32_e32 v84, 0, v84
	v_frexp_mant_f32_e32 v93, v89
	v_frexp_exp_i32_f32_e32 v94, v89
	v_cvt_f32_f16_e32 v88, v83
	v_cvt_f32_f16_sdwa v89, v83 dst_sel:DWORD dst_unused:UNUSED_PAD src0_sel:WORD_1
	v_ldexp_f32 v82, v82, v84
	v_cvt_f32_f16_e32 v84, v85
	v_cvt_f32_f16_sdwa v85, v85 dst_sel:DWORD dst_unused:UNUSED_PAD src0_sel:WORD_1
	v_pk_add_f32 v[76:77], v[76:77], v[88:89]
	v_rcp_f32_e32 v93, v93
	v_sub_u32_e32 v83, 0, v94
	v_pk_add_f32 v[76:77], v[76:77], v[84:85]
	v_ldexp_f32 v83, v93, v83
	v_mul_f32_e32 v84, 0x3d92220c, v76
	v_fma_f32 v84, -v76, v84, s10
	v_mul_f32_e32 v84, v76, v84
	v_mul_f32_e32 v85, 0x3fb8aa3b, v84
	v_fma_f32 v88, v84, s11, -v85
	v_rndne_f32_e32 v89, v85
	v_fmac_f32_e32 v88, 0x32a5705f, v84
	v_sub_f32_e32 v85, v85, v89
	v_add_f32_e32 v85, v85, v88
	v_exp_f32_e32 v85, v85
	v_cvt_i32_f32_e32 v88, v89
	v_pk_mul_f32 v[74:75], v[74:75], v[82:83]
	v_mul_f32_e32 v82, 0x3d92220c, v77
	v_fma_f32 v82, -v77, v82, s10
	v_mul_f32_e32 v83, v77, v82
	v_mul_f32_e32 v82, 0x3fb8aa3b, v83
	v_cvt_pk_f16_f32 v74, v74, v75
	v_ldexp_f32 v75, v85, v88
	v_fma_f32 v85, v83, s11, -v82
	v_rndne_f32_e32 v88, v82
	v_fmac_f32_e32 v85, 0x32a5705f, v83
	v_sub_f32_e32 v82, v82, v88
	v_add_f32_e32 v82, v82, v85
	v_exp_f32_e32 v85, v82
	v_cvt_i32_f32_e32 v88, v88
	v_cmp_ngt_f32_e32 vcc, s8, v84
	s_nop 1
	v_cndmask_b32_e32 v75, 0, v75, vcc
	v_cmp_nlt_f32_e32 vcc, s9, v84
	s_nop 1
	v_cndmask_b32_e32 v82, v175, v75, vcc
	v_ldexp_f32 v75, v85, v88
	v_cmp_ngt_f32_e32 vcc, s8, v83
	v_add_lshl_u32 v88, v91, s17, 1
	s_nop 0
	v_cndmask_b32_e32 v75, 0, v75, vcc
	v_cmp_nlt_f32_e32 vcc, s9, v83
	s_nop 1
	v_cndmask_b32_e32 v83, v175, v75, vcc
	v_pk_add_f32 v[82:83], v[82:83], 1.0 op_sel_hi:[1,0]
	s_nop 0
	v_frexp_mant_f32_e32 v75, v82
	v_rcp_f32_e32 v75, v75
	v_frexp_mant_f32_e32 v84, v83
	v_frexp_exp_i32_f32_e32 v82, v82
	v_rcp_f32_e32 v84, v84
	v_sub_u32_e32 v82, 0, v82
	v_ldexp_f32 v82, v75, v82
	v_frexp_exp_i32_f32_e32 v75, v83
	v_sub_u32_e32 v75, 0, v75
	v_ldexp_f32 v83, v84, v75
	v_pk_mul_f32 v[76:77], v[76:77], v[82:83]
	s_nop 0
	v_cvt_pk_f16_f32 v75, v76, v77
	v_lshlrev_b32_e32 v76, 1, v92
	buffer_store_dwordx2 v[74:75], v76, s[12:15], 0 offen
	s_waitcnt lgkmcnt(0)
	s_barrier
	ds_write2_b32 v177, v70, v71 offset1:32
	ds_write2_b32 v177, v72, v73 offset0:64 offset1:96
	s_waitcnt lgkmcnt(0)
	s_barrier
	buffer_load_dwordx2 v[74:75], v87, s[0:3], 0 offen
	buffer_load_dwordx2 v[76:77], v88, s[4:7], 0 offen
	ds_read_b128 v[70:73], v1
	s_waitcnt vmcnt(1)
	v_cvt_f32_f16_e32 v82, v74
	v_cvt_f32_f16_sdwa v83, v74 dst_sel:DWORD dst_unused:UNUSED_PAD src0_sel:WORD_1
	s_waitcnt vmcnt(0)
	v_cvt_f32_f16_e32 v84, v76
	v_cvt_f32_f16_sdwa v85, v76 dst_sel:DWORD dst_unused:UNUSED_PAD src0_sel:WORD_1
	s_waitcnt lgkmcnt(0)
	v_pk_add_f32 v[70:71], v[70:71], v[82:83]
	s_nop 0
	v_pk_add_f32 v[70:71], v[70:71], v[84:85]
	s_nop 0
	v_mul_f32_e32 v74, 0x3d92220c, v70
	v_fma_f32 v74, -v70, v74, s10
	v_mul_f32_e32 v74, v70, v74
	v_mul_f32_e32 v76, 0x3fb8aa3b, v74
	v_fma_f32 v82, v74, s11, -v76
	v_rndne_f32_e32 v83, v76
	v_fmac_f32_e32 v82, 0x32a5705f, v74
	v_sub_f32_e32 v76, v76, v83
	v_add_f32_e32 v76, v76, v82
	v_exp_f32_e32 v76, v76
	v_cvt_i32_f32_e32 v82, v83
	v_cmp_ngt_f32_e32 vcc, s8, v74
	v_ldexp_f32 v76, v76, v82
	v_mul_f32_e32 v82, 0x3d92220c, v71
	v_fma_f32 v82, -v71, v82, s10
	v_mul_f32_e32 v83, v71, v82
	v_mul_f32_e32 v82, 0x3fb8aa3b, v83
	v_fma_f32 v84, v83, s11, -v82
	v_rndne_f32_e32 v85, v82
	v_fmac_f32_e32 v84, 0x32a5705f, v83
	v_sub_f32_e32 v82, v82, v85
	v_add_f32_e32 v82, v82, v84
	v_exp_f32_e32 v84, v82
	v_cvt_i32_f32_e32 v85, v85
	v_cndmask_b32_e32 v76, 0, v76, vcc
	v_cmp_nlt_f32_e32 vcc, s9, v74
	v_ldexp_f32 v74, v84, v85
	s_nop 0
	v_cndmask_b32_e32 v82, v175, v76, vcc
	v_cmp_ngt_f32_e32 vcc, s8, v83
	s_nop 1
	v_cndmask_b32_e32 v74, 0, v74, vcc
	v_cmp_nlt_f32_e32 vcc, s9, v83
	s_nop 1
	v_cndmask_b32_e32 v83, v175, v74, vcc
	v_pk_add_f32 v[82:83], v[82:83], 1.0 op_sel_hi:[1,0]
	s_nop 0
	v_frexp_mant_f32_e32 v74, v82
	v_rcp_f32_e32 v74, v74
	v_frexp_exp_i32_f32_e32 v76, v82
	v_sub_u32_e32 v76, 0, v76
	v_frexp_mant_f32_e32 v84, v83
	v_frexp_exp_i32_f32_e32 v85, v83
	v_cvt_f32_f16_e32 v82, v75
	v_cvt_f32_f16_sdwa v83, v75 dst_sel:DWORD dst_unused:UNUSED_PAD src0_sel:WORD_1
	v_ldexp_f32 v74, v74, v76
	v_cvt_f32_f16_e32 v76, v77
	v_cvt_f32_f16_sdwa v77, v77 dst_sel:DWORD dst_unused:UNUSED_PAD src0_sel:WORD_1
	v_pk_add_f32 v[72:73], v[72:73], v[82:83]
	v_rcp_f32_e32 v84, v84
	v_sub_u32_e32 v75, 0, v85
	v_pk_add_f32 v[72:73], v[72:73], v[76:77]
	v_ldexp_f32 v75, v84, v75
	v_mul_f32_e32 v76, 0x3d92220c, v72
	v_fma_f32 v76, -v72, v76, s10
	v_mul_f32_e32 v76, v72, v76
	v_mul_f32_e32 v77, 0x3fb8aa3b, v76
	v_fma_f32 v82, v76, s11, -v77
	v_rndne_f32_e32 v83, v77
	v_fmac_f32_e32 v82, 0x32a5705f, v76
	v_sub_f32_e32 v77, v77, v83
	v_add_f32_e32 v77, v77, v82
	v_exp_f32_e32 v77, v77
	v_cvt_i32_f32_e32 v82, v83
	v_pk_mul_f32 v[70:71], v[70:71], v[74:75]
	v_mul_f32_e32 v74, 0x3d92220c, v73
	v_fma_f32 v74, -v73, v74, s10
	v_mul_f32_e32 v75, v73, v74
	v_mul_f32_e32 v74, 0x3fb8aa3b, v75
	v_cvt_pk_f16_f32 v70, v70, v71
	v_ldexp_f32 v71, v77, v82
	v_fma_f32 v77, v75, s11, -v74
	v_rndne_f32_e32 v82, v74
	v_fmac_f32_e32 v77, 0x32a5705f, v75
	v_sub_f32_e32 v74, v74, v82
	v_add_f32_e32 v74, v74, v77
	v_exp_f32_e32 v77, v74
	v_cvt_i32_f32_e32 v82, v82
	v_cmp_ngt_f32_e32 vcc, s8, v76
	s_nop 1
	v_cndmask_b32_e32 v71, 0, v71, vcc
	v_cmp_nlt_f32_e32 vcc, s9, v76
	s_nop 1
	v_cndmask_b32_e32 v74, v175, v71, vcc
	v_ldexp_f32 v71, v77, v82
	v_cmp_ngt_f32_e32 vcc, s8, v75
	v_add_lshl_u32 v82, v92, s16, 1
	s_nop 0
	v_cndmask_b32_e32 v71, 0, v71, vcc
	v_cmp_nlt_f32_e32 vcc, s9, v75
	s_nop 1
	v_cndmask_b32_e32 v75, v175, v71, vcc
	v_pk_add_f32 v[74:75], v[74:75], 1.0 op_sel_hi:[1,0]
	s_nop 0
	v_frexp_mant_f32_e32 v71, v74
	v_rcp_f32_e32 v71, v71
	v_frexp_mant_f32_e32 v76, v75
	v_frexp_exp_i32_f32_e32 v74, v74
	v_rcp_f32_e32 v76, v76
	v_sub_u32_e32 v74, 0, v74
	v_ldexp_f32 v74, v71, v74
	v_frexp_exp_i32_f32_e32 v71, v75
	v_sub_u32_e32 v71, 0, v71
	v_ldexp_f32 v75, v76, v71
	v_pk_mul_f32 v[72:73], v[72:73], v[74:75]
	s_nop 0
	v_cvt_pk_f16_f32 v71, v72, v73
	buffer_store_dwordx2 v[70:71], v82, s[12:15], 0 offen
	s_waitcnt lgkmcnt(0)
	s_barrier
	ds_write2_b32 v177, v66, v67 offset1:32
	ds_write2_b32 v177, v68, v69 offset0:64 offset1:96
	v_subrev_u32_e32 v66, 64, v87
	s_waitcnt lgkmcnt(0)
	s_barrier
	buffer_load_dwordx2 v[70:71], v66, s[0:3], 0 offen
	v_subrev_u32_e32 v66, 64, v88
	buffer_load_dwordx2 v[72:73], v66, s[4:7], 0 offen
	ds_read_b128 v[66:69], v1
	s_waitcnt vmcnt(1)
	v_cvt_f32_f16_e32 v74, v70
	v_cvt_f32_f16_sdwa v75, v70 dst_sel:DWORD dst_unused:UNUSED_PAD src0_sel:WORD_1
	s_waitcnt vmcnt(0)
	v_cvt_f32_f16_e32 v76, v72
	v_cvt_f32_f16_sdwa v77, v72 dst_sel:DWORD dst_unused:UNUSED_PAD src0_sel:WORD_1
	s_waitcnt lgkmcnt(0)
	v_pk_add_f32 v[66:67], v[66:67], v[74:75]
	s_nop 0
	v_pk_add_f32 v[66:67], v[66:67], v[76:77]
	s_nop 0
	v_mul_f32_e32 v70, 0x3d92220c, v66
	v_fma_f32 v70, -v66, v70, s10
	v_mul_f32_e32 v70, v66, v70
	v_mul_f32_e32 v72, 0x3fb8aa3b, v70
	v_fma_f32 v74, v70, s11, -v72
	v_rndne_f32_e32 v75, v72
	v_fmac_f32_e32 v74, 0x32a5705f, v70
	v_sub_f32_e32 v72, v72, v75
	v_add_f32_e32 v72, v72, v74
	v_exp_f32_e32 v72, v72
	v_cvt_i32_f32_e32 v74, v75
	v_cmp_ngt_f32_e32 vcc, s8, v70
	v_ldexp_f32 v72, v72, v74
	v_mul_f32_e32 v74, 0x3d92220c, v67
	v_fma_f32 v74, -v67, v74, s10
	v_mul_f32_e32 v75, v67, v74
	v_mul_f32_e32 v74, 0x3fb8aa3b, v75
	v_fma_f32 v76, v75, s11, -v74
	v_rndne_f32_e32 v77, v74
	v_fmac_f32_e32 v76, 0x32a5705f, v75
	v_sub_f32_e32 v74, v74, v77
	v_add_f32_e32 v74, v74, v76
	v_exp_f32_e32 v76, v74
	v_cvt_i32_f32_e32 v77, v77
	v_cndmask_b32_e32 v72, 0, v72, vcc
	v_cmp_nlt_f32_e32 vcc, s9, v70
	v_ldexp_f32 v70, v76, v77
	s_nop 0
	v_cndmask_b32_e32 v74, v175, v72, vcc
	v_cmp_ngt_f32_e32 vcc, s8, v75
	s_nop 1
	v_cndmask_b32_e32 v70, 0, v70, vcc
	v_cmp_nlt_f32_e32 vcc, s9, v75
	s_nop 1
	v_cndmask_b32_e32 v75, v175, v70, vcc
	v_pk_add_f32 v[74:75], v[74:75], 1.0 op_sel_hi:[1,0]
	s_nop 0
	v_frexp_mant_f32_e32 v70, v74
	v_rcp_f32_e32 v70, v70
	v_frexp_exp_i32_f32_e32 v72, v74
	v_sub_u32_e32 v72, 0, v72
	v_frexp_mant_f32_e32 v76, v75
	v_frexp_exp_i32_f32_e32 v77, v75
	v_cvt_f32_f16_e32 v74, v71
	v_cvt_f32_f16_sdwa v75, v71 dst_sel:DWORD dst_unused:UNUSED_PAD src0_sel:WORD_1
	v_ldexp_f32 v70, v70, v72
	v_cvt_f32_f16_e32 v72, v73
	v_cvt_f32_f16_sdwa v73, v73 dst_sel:DWORD dst_unused:UNUSED_PAD src0_sel:WORD_1
	v_pk_add_f32 v[68:69], v[68:69], v[74:75]
	v_rcp_f32_e32 v76, v76
	v_sub_u32_e32 v71, 0, v77
	v_pk_add_f32 v[68:69], v[68:69], v[72:73]
	v_ldexp_f32 v71, v76, v71
	v_mul_f32_e32 v72, 0x3d92220c, v68
	v_fma_f32 v72, -v68, v72, s10
	v_mul_f32_e32 v72, v68, v72
	v_mul_f32_e32 v73, 0x3fb8aa3b, v72
	v_fma_f32 v74, v72, s11, -v73
	v_rndne_f32_e32 v75, v73
	v_fmac_f32_e32 v74, 0x32a5705f, v72
	v_sub_f32_e32 v73, v73, v75
	v_add_f32_e32 v73, v73, v74
	v_exp_f32_e32 v73, v73
	v_cvt_i32_f32_e32 v74, v75
	v_pk_mul_f32 v[66:67], v[66:67], v[70:71]
	v_mul_f32_e32 v70, 0x3d92220c, v69
	v_fma_f32 v70, -v69, v70, s10
	v_mul_f32_e32 v71, v69, v70
	v_mul_f32_e32 v70, 0x3fb8aa3b, v71
	v_cvt_pk_f16_f32 v66, v66, v67
	v_ldexp_f32 v67, v73, v74
	v_fma_f32 v73, v71, s11, -v70
	v_rndne_f32_e32 v74, v70
	v_fmac_f32_e32 v73, 0x32a5705f, v71
	v_sub_f32_e32 v70, v70, v74
	v_add_f32_e32 v70, v70, v73
	v_exp_f32_e32 v73, v70
	v_cvt_i32_f32_e32 v74, v74
	v_cmp_ngt_f32_e32 vcc, s8, v72
	s_nop 1
	v_cndmask_b32_e32 v67, 0, v67, vcc
	v_cmp_nlt_f32_e32 vcc, s9, v72
	s_nop 1
	v_cndmask_b32_e32 v70, v175, v67, vcc
	v_ldexp_f32 v67, v73, v74
	v_cmp_ngt_f32_e32 vcc, s8, v71
	s_nop 1
	v_cndmask_b32_e32 v67, 0, v67, vcc
	v_cmp_nlt_f32_e32 vcc, s9, v71
	s_nop 1
	v_cndmask_b32_e32 v71, v175, v67, vcc
	v_pk_add_f32 v[70:71], v[70:71], 1.0 op_sel_hi:[1,0]
	s_nop 0
	v_frexp_mant_f32_e32 v67, v70
	v_rcp_f32_e32 v67, v67
	v_frexp_mant_f32_e32 v72, v71
	v_frexp_exp_i32_f32_e32 v70, v70
	v_rcp_f32_e32 v72, v72
	v_sub_u32_e32 v70, 0, v70
	v_ldexp_f32 v70, v67, v70
	v_frexp_exp_i32_f32_e32 v67, v71
	v_sub_u32_e32 v67, 0, v67
	v_ldexp_f32 v71, v72, v67
	v_pk_mul_f32 v[68:69], v[68:69], v[70:71]
	s_nop 0
	v_cvt_pk_f16_f32 v67, v68, v69
	v_subrev_u32_e32 v68, 64, v82
	buffer_store_dwordx2 v[66:67], v68, s[12:15], 0 offen
	s_waitcnt lgkmcnt(0)
	s_barrier
	ds_write2_b32 v177, v62, v63 offset1:32
	ds_write2_b32 v177, v64, v65 offset0:64 offset1:96
	v_add_u32_e32 v62, 0xffffff80, v87
	s_waitcnt lgkmcnt(0)
	s_barrier
	buffer_load_dwordx2 v[66:67], v62, s[0:3], 0 offen
	v_add_u32_e32 v62, 0xffffff80, v88
	buffer_load_dwordx2 v[68:69], v62, s[4:7], 0 offen
	ds_read_b128 v[62:65], v1
	s_waitcnt vmcnt(1)
	v_cvt_f32_f16_e32 v70, v66
	v_cvt_f32_f16_sdwa v71, v66 dst_sel:DWORD dst_unused:UNUSED_PAD src0_sel:WORD_1
	s_waitcnt vmcnt(0)
	v_cvt_f32_f16_e32 v72, v68
	v_cvt_f32_f16_sdwa v73, v68 dst_sel:DWORD dst_unused:UNUSED_PAD src0_sel:WORD_1
	s_waitcnt lgkmcnt(0)
	v_pk_add_f32 v[62:63], v[62:63], v[70:71]
	s_nop 0
	v_pk_add_f32 v[62:63], v[62:63], v[72:73]
	s_nop 0
	v_mul_f32_e32 v66, 0x3d92220c, v62
	v_fma_f32 v66, -v62, v66, s10
	v_mul_f32_e32 v66, v62, v66
	v_mul_f32_e32 v68, 0x3fb8aa3b, v66
	v_fma_f32 v70, v66, s11, -v68
	v_rndne_f32_e32 v71, v68
	v_fmac_f32_e32 v70, 0x32a5705f, v66
	v_sub_f32_e32 v68, v68, v71
	v_add_f32_e32 v68, v68, v70
	v_exp_f32_e32 v68, v68
	v_cvt_i32_f32_e32 v70, v71
	v_cmp_ngt_f32_e32 vcc, s8, v66
	v_ldexp_f32 v68, v68, v70
	v_mul_f32_e32 v70, 0x3d92220c, v63
	v_fma_f32 v70, -v63, v70, s10
	v_mul_f32_e32 v71, v63, v70
	v_mul_f32_e32 v70, 0x3fb8aa3b, v71
	v_fma_f32 v72, v71, s11, -v70
	v_rndne_f32_e32 v73, v70
	v_fmac_f32_e32 v72, 0x32a5705f, v71
	v_sub_f32_e32 v70, v70, v73
	v_add_f32_e32 v70, v70, v72
	v_exp_f32_e32 v72, v70
	v_cvt_i32_f32_e32 v73, v73
	v_cndmask_b32_e32 v68, 0, v68, vcc
	v_cmp_nlt_f32_e32 vcc, s9, v66
	v_ldexp_f32 v66, v72, v73
	s_nop 0
	v_cndmask_b32_e32 v70, v175, v68, vcc
	v_cmp_ngt_f32_e32 vcc, s8, v71
	s_nop 1
	v_cndmask_b32_e32 v66, 0, v66, vcc
	v_cmp_nlt_f32_e32 vcc, s9, v71
	s_nop 1
	v_cndmask_b32_e32 v71, v175, v66, vcc
	v_pk_add_f32 v[70:71], v[70:71], 1.0 op_sel_hi:[1,0]
	s_nop 0
	v_frexp_mant_f32_e32 v66, v70
	v_rcp_f32_e32 v66, v66
	v_frexp_exp_i32_f32_e32 v68, v70
	v_sub_u32_e32 v68, 0, v68
	v_frexp_mant_f32_e32 v72, v71
	v_frexp_exp_i32_f32_e32 v73, v71
	v_cvt_f32_f16_e32 v70, v67
	v_cvt_f32_f16_sdwa v71, v67 dst_sel:DWORD dst_unused:UNUSED_PAD src0_sel:WORD_1
	v_ldexp_f32 v66, v66, v68
	v_cvt_f32_f16_e32 v68, v69
	v_cvt_f32_f16_sdwa v69, v69 dst_sel:DWORD dst_unused:UNUSED_PAD src0_sel:WORD_1
	v_pk_add_f32 v[64:65], v[64:65], v[70:71]
	v_rcp_f32_e32 v72, v72
	v_sub_u32_e32 v67, 0, v73
	v_pk_add_f32 v[64:65], v[64:65], v[68:69]
	v_ldexp_f32 v67, v72, v67
	v_mul_f32_e32 v68, 0x3d92220c, v64
	v_fma_f32 v68, -v64, v68, s10
	v_mul_f32_e32 v68, v64, v68
	v_mul_f32_e32 v69, 0x3fb8aa3b, v68
	v_fma_f32 v70, v68, s11, -v69
	v_rndne_f32_e32 v71, v69
	v_fmac_f32_e32 v70, 0x32a5705f, v68
	v_sub_f32_e32 v69, v69, v71
	v_add_f32_e32 v69, v69, v70
	v_exp_f32_e32 v69, v69
	v_cvt_i32_f32_e32 v70, v71
	v_pk_mul_f32 v[62:63], v[62:63], v[66:67]
	v_mul_f32_e32 v66, 0x3d92220c, v65
	v_fma_f32 v66, -v65, v66, s10
	v_mul_f32_e32 v67, v65, v66
	v_mul_f32_e32 v66, 0x3fb8aa3b, v67
	v_cvt_pk_f16_f32 v62, v62, v63
	v_ldexp_f32 v63, v69, v70
	v_fma_f32 v69, v67, s11, -v66
	v_rndne_f32_e32 v70, v66
	v_fmac_f32_e32 v69, 0x32a5705f, v67
	v_sub_f32_e32 v66, v66, v70
	v_add_f32_e32 v66, v66, v69
	v_exp_f32_e32 v69, v66
	v_cvt_i32_f32_e32 v70, v70
	v_cmp_ngt_f32_e32 vcc, s8, v68
	s_nop 1
	v_cndmask_b32_e32 v63, 0, v63, vcc
	v_cmp_nlt_f32_e32 vcc, s9, v68
	s_nop 1
	v_cndmask_b32_e32 v66, v175, v63, vcc
	v_ldexp_f32 v63, v69, v70
	v_cmp_ngt_f32_e32 vcc, s8, v67
	v_add_u32_e32 v70, s17, v90
	s_nop 0
	v_cndmask_b32_e32 v63, 0, v63, vcc
	v_cmp_nlt_f32_e32 vcc, s9, v67
	s_nop 1
	v_cndmask_b32_e32 v67, v175, v63, vcc
	v_pk_add_f32 v[66:67], v[66:67], 1.0 op_sel_hi:[1,0]
	s_nop 0
	v_frexp_mant_f32_e32 v63, v66
	v_rcp_f32_e32 v63, v63
	v_frexp_mant_f32_e32 v68, v67
	v_frexp_exp_i32_f32_e32 v66, v66
	v_rcp_f32_e32 v68, v68
	v_sub_u32_e32 v66, 0, v66
	v_ldexp_f32 v66, v63, v66
	v_frexp_exp_i32_f32_e32 v63, v67
	v_sub_u32_e32 v63, 0, v63
	v_ldexp_f32 v67, v68, v63
	v_pk_mul_f32 v[64:65], v[64:65], v[66:67]
	s_nop 0
	v_cvt_pk_f16_f32 v63, v64, v65
	v_add_u32_e32 v64, 0xffffff80, v82
	buffer_store_dwordx2 v[62:63], v64, s[12:15], 0 offen
	s_waitcnt lgkmcnt(0)
	s_barrier
	ds_write2_b32 v177, v54, v55 offset1:32
	ds_write2_b32 v177, v56, v57 offset0:64 offset1:96
	v_lshlrev_b32_e32 v54, 1, v0
	s_waitcnt lgkmcnt(0)
	s_barrier
	buffer_load_dwordx2 v[66:67], v54, s[0:3], 0 offen
	v_lshlrev_b32_e32 v54, 1, v70
	buffer_load_dwordx2 v[68:69], v54, s[4:7], 0 offen
	ds_read_b128 v[54:57], v1
	s_waitcnt vmcnt(1)
	v_cvt_f32_f16_e32 v62, v66
	v_cvt_f32_f16_sdwa v63, v66 dst_sel:DWORD dst_unused:UNUSED_PAD src0_sel:WORD_1
	s_waitcnt vmcnt(0)
	v_cvt_f32_f16_e32 v64, v68
	v_cvt_f32_f16_sdwa v65, v68 dst_sel:DWORD dst_unused:UNUSED_PAD src0_sel:WORD_1
	s_waitcnt lgkmcnt(0)
	v_pk_add_f32 v[54:55], v[54:55], v[62:63]
	s_nop 0
	v_pk_add_f32 v[54:55], v[54:55], v[64:65]
	s_nop 0
	v_mul_f32_e32 v62, 0x3d92220c, v54
	v_fma_f32 v62, -v54, v62, s10
	v_mul_f32_e32 v66, v54, v62
	v_mul_f32_e32 v62, 0x3fb8aa3b, v66
	v_fma_f32 v63, v66, s11, -v62
	v_rndne_f32_e32 v64, v62
	v_fmac_f32_e32 v63, 0x32a5705f, v66
	v_sub_f32_e32 v62, v62, v64
	v_add_f32_e32 v62, v62, v63
	v_exp_f32_e32 v68, v62
	v_cvt_i32_f32_e32 v71, v64
	v_mfma_f32_16x16x32_f16 v[62:65], v[58:61], v[22:25], v[46:49]
	v_cmp_ngt_f32_e32 vcc, s8, v66
	s_nop 1
	v_mul_f32_e32 v47, 0x3d92220c, v55
	v_fma_f32 v47, -v55, v47, s10
	v_mul_f32_e32 v47, v55, v47
	v_mul_f32_e32 v48, 0x3fb8aa3b, v47
	v_ldexp_f32 v46, v68, v71
	v_fma_f32 v49, v47, s11, -v48
	v_rndne_f32_e32 v68, v48
	v_fmac_f32_e32 v49, 0x32a5705f, v47
	v_sub_f32_e32 v48, v48, v68
	v_add_f32_e32 v48, v48, v49
	v_exp_f32_e32 v48, v48
	v_cvt_i32_f32_e32 v49, v68
	v_cndmask_b32_e32 v46, 0, v46, vcc
	v_cmp_nlt_f32_e32 vcc, s9, v66
	v_cvt_f32_f16_e32 v66, v69
	v_ldexp_f32 v48, v48, v49
	v_cndmask_b32_e32 v46, v175, v46, vcc
	v_cmp_ngt_f32_e32 vcc, s8, v47
	v_cvt_f32_f16_sdwa v49, v67 dst_sel:DWORD dst_unused:UNUSED_PAD src0_sel:WORD_1
	v_add_u32_e32 v68, s16, v86
	v_cndmask_b32_e32 v48, 0, v48, vcc
	v_cmp_nlt_f32_e32 vcc, s9, v47
	s_nop 1
	v_cndmask_b32_e32 v47, v175, v48, vcc
	v_pk_add_f32 v[46:47], v[46:47], 1.0 op_sel_hi:[1,0]
	s_nop 0
	v_frexp_mant_f32_e32 v48, v46
	v_rcp_f32_e32 v48, v48
	v_frexp_exp_i32_f32_e32 v46, v46
	v_sub_u32_e32 v46, 0, v46
	v_frexp_mant_f32_e32 v71, v47
	v_ldexp_f32 v46, v48, v46
	v_cvt_f32_f16_e32 v48, v67
	v_cvt_f32_f16_sdwa v67, v69 dst_sel:DWORD dst_unused:UNUSED_PAD src0_sel:WORD_1
	v_rcp_f32_e32 v69, v71
	v_frexp_exp_i32_f32_e32 v47, v47
	v_pk_add_f32 v[48:49], v[56:57], v[48:49]
	v_sub_u32_e32 v47, 0, v47
	v_pk_add_f32 v[48:49], v[48:49], v[66:67]
	v_ldexp_f32 v47, v69, v47
	v_mul_f32_e32 v56, 0x3d92220c, v48
	v_fma_f32 v56, -v48, v56, s10
	v_mul_f32_e32 v56, v48, v56
	v_mul_f32_e32 v57, 0x3fb8aa3b, v56
	v_fma_f32 v66, v56, s11, -v57
	v_rndne_f32_e32 v67, v57
	v_fmac_f32_e32 v66, 0x32a5705f, v56
	v_sub_f32_e32 v57, v57, v67
	v_add_f32_e32 v57, v57, v66
	v_exp_f32_e32 v57, v57
	v_cvt_i32_f32_e32 v66, v67
	v_pk_mul_f32 v[46:47], v[54:55], v[46:47]
	v_mul_f32_e32 v54, 0x3d92220c, v49
	v_fma_f32 v54, -v49, v54, s10
	v_mul_f32_e32 v55, v49, v54
	v_mul_f32_e32 v54, 0x3fb8aa3b, v55
	v_cvt_pk_f16_f32 v46, v46, v47
	v_ldexp_f32 v47, v57, v66
	v_fma_f32 v57, v55, s11, -v54
	v_rndne_f32_e32 v66, v54
	v_fmac_f32_e32 v57, 0x32a5705f, v55
	v_sub_f32_e32 v54, v54, v66
	v_add_f32_e32 v54, v54, v57
	v_exp_f32_e32 v57, v54
	v_cvt_i32_f32_e32 v66, v66
	v_cmp_ngt_f32_e32 vcc, s8, v56
	s_nop 1
	v_cndmask_b32_e32 v47, 0, v47, vcc
	v_cmp_nlt_f32_e32 vcc, s9, v56
	s_nop 1
	v_cndmask_b32_e32 v54, v175, v47, vcc
	v_ldexp_f32 v47, v57, v66
	v_cmp_ngt_f32_e32 vcc, s8, v55
	s_nop 1
	v_cndmask_b32_e32 v47, 0, v47, vcc
	v_cmp_nlt_f32_e32 vcc, s9, v55
	s_nop 1
	v_cndmask_b32_e32 v55, v175, v47, vcc
	v_pk_add_f32 v[54:55], v[54:55], 1.0 op_sel_hi:[1,0]
	s_nop 0
	v_frexp_mant_f32_e32 v47, v54
	v_rcp_f32_e32 v47, v47
	v_frexp_mant_f32_e32 v56, v55
	v_frexp_exp_i32_f32_e32 v54, v54
	v_rcp_f32_e32 v56, v56
	v_sub_u32_e32 v54, 0, v54
	v_ldexp_f32 v54, v47, v54
	v_frexp_exp_i32_f32_e32 v47, v55
	v_sub_u32_e32 v47, 0, v47
	v_ldexp_f32 v55, v56, v47
	v_pk_mul_f32 v[48:49], v[48:49], v[54:55]
	s_nop 0
	v_cvt_pk_f16_f32 v47, v48, v49
	v_lshlrev_b32_e32 v48, 1, v68
	buffer_store_dwordx2 v[46:47], v48, s[12:15], 0 offen
	v_add_u32_e32 v47, s18, v0
	v_add_u32_e32 v46, s17, v70
	v_lshlrev_b32_e32 v69, 1, v47
	s_waitcnt lgkmcnt(0)
	s_barrier
	ds_write2_b32 v177, v62, v63 offset1:32
	ds_write2_b32 v177, v64, v65 offset0:64 offset1:96
	s_waitcnt lgkmcnt(0)
	s_barrier
	buffer_load_dwordx2 v[48:49], v69, s[0:3], 0 offen
	v_lshlrev_b32_e32 v70, 1, v46
	buffer_load_dwordx2 v[62:63], v70, s[4:7], 0 offen
	ds_read_b128 v[54:57], v1
	s_waitcnt vmcnt(1)
	v_cvt_f32_f16_e32 v64, v48
	v_cvt_f32_f16_sdwa v65, v48 dst_sel:DWORD dst_unused:UNUSED_PAD src0_sel:WORD_1
	s_waitcnt vmcnt(0)
	v_cvt_f32_f16_e32 v66, v62
	v_cvt_f32_f16_sdwa v67, v62 dst_sel:DWORD dst_unused:UNUSED_PAD src0_sel:WORD_1
	s_waitcnt lgkmcnt(0)
	v_pk_add_f32 v[54:55], v[54:55], v[64:65]
	s_nop 0
	v_pk_add_f32 v[54:55], v[54:55], v[66:67]
	s_nop 0
	v_mul_f32_e32 v0, 0x3d92220c, v54
	v_fma_f32 v0, -v54, v0, s10
	v_mul_f32_e32 v0, v54, v0
	v_mul_f32_e32 v48, 0x3fb8aa3b, v0
	v_fma_f32 v62, v0, s11, -v48
	v_rndne_f32_e32 v64, v48
	v_fmac_f32_e32 v62, 0x32a5705f, v0
	v_sub_f32_e32 v48, v48, v64
	v_add_f32_e32 v48, v48, v62
	v_exp_f32_e32 v48, v48
	v_cvt_i32_f32_e32 v62, v64
	v_cmp_ngt_f32_e32 vcc, s8, v0
	v_ldexp_f32 v48, v48, v62
	v_mul_f32_e32 v62, 0x3d92220c, v55
	v_fma_f32 v62, -v55, v62, s10
	v_mul_f32_e32 v62, v55, v62
	v_mul_f32_e32 v64, 0x3fb8aa3b, v62
	v_fma_f32 v65, v62, s11, -v64
	v_rndne_f32_e32 v66, v64
	v_fmac_f32_e32 v65, 0x32a5705f, v62
	v_sub_f32_e32 v64, v64, v66
	v_add_f32_e32 v64, v64, v65
	v_exp_f32_e32 v65, v64
	v_cvt_i32_f32_e32 v66, v66
	v_cndmask_b32_e32 v48, 0, v48, vcc
	v_cmp_nlt_f32_e32 vcc, s9, v0
	v_ldexp_f32 v0, v65, v66
	s_nop 0
	v_cndmask_b32_e32 v64, v175, v48, vcc
	v_cmp_ngt_f32_e32 vcc, s8, v62
	s_nop 1
	v_cndmask_b32_e32 v0, 0, v0, vcc
	v_cmp_nlt_f32_e32 vcc, s9, v62
	s_nop 1
	v_cndmask_b32_e32 v65, v175, v0, vcc
	v_pk_add_f32 v[64:65], v[64:65], 1.0 op_sel_hi:[1,0]
	s_nop 0
	v_frexp_mant_f32_e32 v0, v64
	v_rcp_f32_e32 v48, v0
	v_frexp_exp_i32_f32_e32 v62, v64
	v_sub_u32_e32 v62, 0, v62
	v_frexp_mant_f32_e32 v66, v65
	v_frexp_exp_i32_f32_e32 v67, v65
	v_cvt_f32_f16_e32 v64, v49
	v_cvt_f32_f16_sdwa v65, v49 dst_sel:DWORD dst_unused:UNUSED_PAD src0_sel:WORD_1
	v_ldexp_f32 v48, v48, v62
	v_cvt_f32_f16_e32 v62, v63
	v_cvt_f32_f16_sdwa v63, v63 dst_sel:DWORD dst_unused:UNUSED_PAD src0_sel:WORD_1
	v_pk_add_f32 v[56:57], v[56:57], v[64:65]
	v_rcp_f32_e32 v66, v66
	v_sub_u32_e32 v49, 0, v67
	v_pk_add_f32 v[56:57], v[56:57], v[62:63]
	v_add_u32_e32 v0, s16, v68
	v_mul_f32_e32 v62, 0x3d92220c, v56
	v_fma_f32 v62, -v56, v62, s10
	v_mul_f32_e32 v62, v56, v62
	v_mul_f32_e32 v63, 0x3fb8aa3b, v62
	v_fma_f32 v64, v62, s11, -v63
	v_rndne_f32_e32 v65, v63
	v_fmac_f32_e32 v64, 0x32a5705f, v62
	v_sub_f32_e32 v63, v63, v65
	v_add_f32_e32 v63, v63, v64
	v_ldexp_f32 v49, v66, v49
	v_exp_f32_e32 v63, v63
	v_cvt_i32_f32_e32 v64, v65
	v_pk_mul_f32 v[48:49], v[54:55], v[48:49]
	v_mul_f32_e32 v54, 0x3d92220c, v57
	v_fma_f32 v54, -v57, v54, s10
	v_mul_f32_e32 v55, v57, v54
	v_mul_f32_e32 v54, 0x3fb8aa3b, v55
	v_cvt_pk_f16_f32 v48, v48, v49
	v_ldexp_f32 v49, v63, v64
	v_fma_f32 v63, v55, s11, -v54
	v_rndne_f32_e32 v64, v54
	v_fmac_f32_e32 v63, 0x32a5705f, v55
	v_sub_f32_e32 v54, v54, v64
	v_add_f32_e32 v54, v54, v63
	v_exp_f32_e32 v63, v54
	v_cvt_i32_f32_e32 v64, v64
	v_cmp_ngt_f32_e32 vcc, s8, v62
	s_nop 1
	v_cndmask_b32_e32 v49, 0, v49, vcc
	v_cmp_nlt_f32_e32 vcc, s9, v62
	s_nop 1
	v_cndmask_b32_e32 v54, v175, v49, vcc
	v_ldexp_f32 v49, v63, v64
	v_cmp_ngt_f32_e32 vcc, s8, v55
	v_lshlrev_b32_e32 v64, 1, v0
	s_nop 0
	v_cndmask_b32_e32 v49, 0, v49, vcc
	v_cmp_nlt_f32_e32 vcc, s9, v55
	s_nop 1
	v_cndmask_b32_e32 v55, v175, v49, vcc
	v_pk_add_f32 v[54:55], v[54:55], 1.0 op_sel_hi:[1,0]
	s_nop 0
	v_frexp_mant_f32_e32 v49, v54
	v_rcp_f32_e32 v49, v49
	v_frexp_mant_f32_e32 v62, v55
	v_frexp_exp_i32_f32_e32 v54, v54
	v_rcp_f32_e32 v62, v62
	v_sub_u32_e32 v54, 0, v54
	v_ldexp_f32 v54, v49, v54
	v_frexp_exp_i32_f32_e32 v49, v55
	v_sub_u32_e32 v49, 0, v49
	v_ldexp_f32 v55, v62, v49
	v_pk_mul_f32 v[54:55], v[56:57], v[54:55]
	s_nop 0
	v_cvt_pk_f16_f32 v49, v54, v55
	buffer_store_dwordx2 v[48:49], v64, s[12:15], 0 offen
	s_waitcnt lgkmcnt(0)
	s_barrier
	ds_write2_b32 v177, v38, v39 offset1:32
	ds_write2_b32 v177, v40, v41 offset0:64 offset1:96
	s_waitcnt lgkmcnt(0)
	s_barrier
	buffer_load_dwordx2 v[48:49], v69, s[0:3], 0 offen offset:64
	buffer_load_dwordx2 v[54:55], v70, s[4:7], 0 offen offset:64
	ds_read_b128 v[38:41], v1
	s_waitcnt vmcnt(1)
	v_cvt_f32_f16_e32 v56, v48
	v_cvt_f32_f16_sdwa v57, v48 dst_sel:DWORD dst_unused:UNUSED_PAD src0_sel:WORD_1
	s_waitcnt vmcnt(0)
	v_cvt_f32_f16_e32 v62, v54
	v_cvt_f32_f16_sdwa v63, v54 dst_sel:DWORD dst_unused:UNUSED_PAD src0_sel:WORD_1
	s_waitcnt lgkmcnt(0)
	v_pk_add_f32 v[38:39], v[38:39], v[56:57]
	s_nop 0
	v_pk_add_f32 v[38:39], v[38:39], v[62:63]
	s_nop 0
	v_mul_f32_e32 v48, 0x3d92220c, v38
	v_fma_f32 v48, -v38, v48, s10
	v_mul_f32_e32 v48, v38, v48
	v_mul_f32_e32 v54, 0x3fb8aa3b, v48
	v_fma_f32 v56, v48, s11, -v54
	v_rndne_f32_e32 v57, v54
	v_fmac_f32_e32 v56, 0x32a5705f, v48
	v_sub_f32_e32 v54, v54, v57
	v_add_f32_e32 v54, v54, v56
	v_exp_f32_e32 v54, v54
	v_cvt_i32_f32_e32 v56, v57
	v_cmp_ngt_f32_e32 vcc, s8, v48
	v_ldexp_f32 v54, v54, v56
	v_mul_f32_e32 v56, 0x3d92220c, v39
	v_fma_f32 v56, -v39, v56, s10
	v_mul_f32_e32 v57, v39, v56
	v_mul_f32_e32 v56, 0x3fb8aa3b, v57
	v_fma_f32 v62, v57, s11, -v56
	v_rndne_f32_e32 v63, v56
	v_fmac_f32_e32 v62, 0x32a5705f, v57
	v_sub_f32_e32 v56, v56, v63
	v_add_f32_e32 v56, v56, v62
	v_exp_f32_e32 v62, v56
	v_cvt_i32_f32_e32 v63, v63
	v_cndmask_b32_e32 v54, 0, v54, vcc
	v_cmp_nlt_f32_e32 vcc, s9, v48
	v_ldexp_f32 v48, v62, v63
	s_nop 0
	v_cndmask_b32_e32 v56, v175, v54, vcc
	v_cmp_ngt_f32_e32 vcc, s8, v57
	s_nop 1
	v_cndmask_b32_e32 v48, 0, v48, vcc
	v_cmp_nlt_f32_e32 vcc, s9, v57
	s_nop 1
	v_cndmask_b32_e32 v57, v175, v48, vcc
	v_pk_add_f32 v[56:57], v[56:57], 1.0 op_sel_hi:[1,0]
	s_nop 0
	v_frexp_mant_f32_e32 v48, v56
	v_rcp_f32_e32 v48, v48
	v_frexp_exp_i32_f32_e32 v54, v56
	v_sub_u32_e32 v54, 0, v54
	v_frexp_mant_f32_e32 v62, v57
	v_frexp_exp_i32_f32_e32 v63, v57
	v_cvt_f32_f16_e32 v56, v49
	v_cvt_f32_f16_sdwa v57, v49 dst_sel:DWORD dst_unused:UNUSED_PAD src0_sel:WORD_1
	v_ldexp_f32 v48, v48, v54
	v_cvt_f32_f16_e32 v54, v55
	v_cvt_f32_f16_sdwa v55, v55 dst_sel:DWORD dst_unused:UNUSED_PAD src0_sel:WORD_1
	v_pk_add_f32 v[40:41], v[40:41], v[56:57]
	v_rcp_f32_e32 v62, v62
	v_sub_u32_e32 v49, 0, v63
	v_pk_add_f32 v[40:41], v[40:41], v[54:55]
	v_ldexp_f32 v49, v62, v49
	v_mul_f32_e32 v54, 0x3d92220c, v40
	v_fma_f32 v54, -v40, v54, s10
	v_mul_f32_e32 v54, v40, v54
	v_mul_f32_e32 v55, 0x3fb8aa3b, v54
	v_fma_f32 v56, v54, s11, -v55
	v_rndne_f32_e32 v57, v55
	v_fmac_f32_e32 v56, 0x32a5705f, v54
	v_sub_f32_e32 v55, v55, v57
	v_add_f32_e32 v55, v55, v56
	v_exp_f32_e32 v55, v55
	v_cvt_i32_f32_e32 v56, v57
	v_pk_mul_f32 v[38:39], v[38:39], v[48:49]
	v_mul_f32_e32 v48, 0x3d92220c, v41
	v_fma_f32 v48, -v41, v48, s10
	v_mul_f32_e32 v49, v41, v48
	v_mul_f32_e32 v48, 0x3fb8aa3b, v49
	v_cvt_pk_f16_f32 v38, v38, v39
	v_ldexp_f32 v39, v55, v56
	v_fma_f32 v55, v49, s11, -v48
	v_rndne_f32_e32 v56, v48
	v_fmac_f32_e32 v55, 0x32a5705f, v49
	v_sub_f32_e32 v48, v48, v56
	v_add_f32_e32 v48, v48, v55
	v_exp_f32_e32 v55, v48
	v_cvt_i32_f32_e32 v56, v56
	v_cmp_ngt_f32_e32 vcc, s8, v54
	s_nop 1
	v_cndmask_b32_e32 v39, 0, v39, vcc
	v_cmp_nlt_f32_e32 vcc, s9, v54
	s_nop 1
	v_cndmask_b32_e32 v48, v175, v39, vcc
	v_ldexp_f32 v39, v55, v56
	v_cmp_ngt_f32_e32 vcc, s8, v49
	s_nop 1
	v_cndmask_b32_e32 v39, 0, v39, vcc
	v_cmp_nlt_f32_e32 vcc, s9, v49
	s_nop 1
	v_cndmask_b32_e32 v49, v175, v39, vcc
	v_pk_add_f32 v[48:49], v[48:49], 1.0 op_sel_hi:[1,0]
	s_nop 0
	v_frexp_mant_f32_e32 v39, v48
	v_rcp_f32_e32 v39, v39
	v_frexp_mant_f32_e32 v54, v49
	v_frexp_exp_i32_f32_e32 v48, v48
	v_rcp_f32_e32 v54, v54
	v_sub_u32_e32 v48, 0, v48
	v_ldexp_f32 v48, v39, v48
	v_frexp_exp_i32_f32_e32 v39, v49
	v_sub_u32_e32 v39, 0, v39
	v_ldexp_f32 v49, v54, v39
	v_pk_mul_f32 v[40:41], v[40:41], v[48:49]
	s_nop 0
	v_cvt_pk_f16_f32 v39, v40, v41
	buffer_store_dwordx2 v[38:39], v64, s[12:15], 0 offen offset:64
	s_waitcnt lgkmcnt(0)
	s_barrier
	ds_write2_b32 v177, v26, v27 offset1:32
	ds_write2_b32 v177, v28, v29 offset0:64 offset1:96
	s_waitcnt lgkmcnt(0)
	s_barrier
	buffer_load_dwordx2 v[38:39], v69, s[0:3], 0 offen offset:128
	buffer_load_dwordx2 v[40:41], v70, s[4:7], 0 offen offset:128
	ds_read_b128 v[26:29], v1
	s_waitcnt vmcnt(1)
	v_cvt_f32_f16_e32 v48, v38
	v_cvt_f32_f16_sdwa v49, v38 dst_sel:DWORD dst_unused:UNUSED_PAD src0_sel:WORD_1
	s_waitcnt vmcnt(0)
	v_cvt_f32_f16_e32 v54, v40
	v_cvt_f32_f16_sdwa v55, v40 dst_sel:DWORD dst_unused:UNUSED_PAD src0_sel:WORD_1
	s_waitcnt lgkmcnt(0)
	v_pk_add_f32 v[26:27], v[26:27], v[48:49]
	s_nop 0
	v_pk_add_f32 v[26:27], v[26:27], v[54:55]
	s_nop 0
	v_mul_f32_e32 v38, 0x3d92220c, v26
	v_fma_f32 v38, -v26, v38, s10
	v_mul_f32_e32 v38, v26, v38
	v_mul_f32_e32 v40, 0x3fb8aa3b, v38
	v_fma_f32 v48, v38, s11, -v40
	v_rndne_f32_e32 v49, v40
	v_fmac_f32_e32 v48, 0x32a5705f, v38
	v_sub_f32_e32 v40, v40, v49
	v_add_f32_e32 v40, v40, v48
	v_exp_f32_e32 v40, v40
	v_cvt_i32_f32_e32 v48, v49
	v_cmp_ngt_f32_e32 vcc, s8, v38
	v_ldexp_f32 v40, v40, v48
	v_mul_f32_e32 v48, 0x3d92220c, v27
	v_fma_f32 v48, -v27, v48, s10
	v_mul_f32_e32 v49, v27, v48
	v_mul_f32_e32 v48, 0x3fb8aa3b, v49
	v_fma_f32 v54, v49, s11, -v48
	v_rndne_f32_e32 v55, v48
	v_fmac_f32_e32 v54, 0x32a5705f, v49
	v_sub_f32_e32 v48, v48, v55
	v_add_f32_e32 v48, v48, v54
	v_exp_f32_e32 v54, v48
	v_cvt_i32_f32_e32 v55, v55
	v_cndmask_b32_e32 v40, 0, v40, vcc
	v_cmp_nlt_f32_e32 vcc, s9, v38
	v_ldexp_f32 v38, v54, v55
	s_nop 0
	v_cndmask_b32_e32 v48, v175, v40, vcc
	v_cmp_ngt_f32_e32 vcc, s8, v49
	s_nop 1
	v_cndmask_b32_e32 v38, 0, v38, vcc
	v_cmp_nlt_f32_e32 vcc, s9, v49
	s_nop 1
	v_cndmask_b32_e32 v49, v175, v38, vcc
	v_pk_add_f32 v[48:49], v[48:49], 1.0 op_sel_hi:[1,0]
	s_nop 0
	v_frexp_mant_f32_e32 v38, v48
	v_rcp_f32_e32 v38, v38
	v_frexp_exp_i32_f32_e32 v40, v48
	v_sub_u32_e32 v40, 0, v40
	v_frexp_mant_f32_e32 v54, v49
	v_frexp_exp_i32_f32_e32 v55, v49
	v_cvt_f32_f16_e32 v48, v39
	v_cvt_f32_f16_sdwa v49, v39 dst_sel:DWORD dst_unused:UNUSED_PAD src0_sel:WORD_1
	v_ldexp_f32 v38, v38, v40
	v_cvt_f32_f16_e32 v40, v41
	v_cvt_f32_f16_sdwa v41, v41 dst_sel:DWORD dst_unused:UNUSED_PAD src0_sel:WORD_1
	v_pk_add_f32 v[28:29], v[28:29], v[48:49]
	v_rcp_f32_e32 v54, v54
	v_sub_u32_e32 v39, 0, v55
	v_pk_add_f32 v[28:29], v[28:29], v[40:41]
	v_ldexp_f32 v39, v54, v39
	v_mul_f32_e32 v40, 0x3d92220c, v28
	v_fma_f32 v40, -v28, v40, s10
	v_mul_f32_e32 v40, v28, v40
	v_mul_f32_e32 v41, 0x3fb8aa3b, v40
	v_fma_f32 v48, v40, s11, -v41
	v_rndne_f32_e32 v49, v41
	v_fmac_f32_e32 v48, 0x32a5705f, v40
	v_sub_f32_e32 v41, v41, v49
	v_add_f32_e32 v41, v41, v48
	v_exp_f32_e32 v41, v41
	v_cvt_i32_f32_e32 v48, v49
	v_pk_mul_f32 v[26:27], v[26:27], v[38:39]
	v_mul_f32_e32 v38, 0x3d92220c, v29
	v_fma_f32 v38, -v29, v38, s10
	v_mul_f32_e32 v39, v29, v38
	v_mul_f32_e32 v38, 0x3fb8aa3b, v39
	v_cvt_pk_f16_f32 v26, v26, v27
	v_ldexp_f32 v27, v41, v48
	v_fma_f32 v41, v39, s11, -v38
	v_rndne_f32_e32 v48, v38
	v_fmac_f32_e32 v41, 0x32a5705f, v39
	v_sub_f32_e32 v38, v38, v48
	v_add_f32_e32 v38, v38, v41
	v_exp_f32_e32 v41, v38
	v_cvt_i32_f32_e32 v48, v48
	v_cmp_ngt_f32_e32 vcc, s8, v40
	v_add_u32_e32 v49, 0x60, v46
	s_nop 0
	v_cndmask_b32_e32 v27, 0, v27, vcc
	v_cmp_nlt_f32_e32 vcc, s9, v40
	s_nop 1
	v_cndmask_b32_e32 v38, v175, v27, vcc
	v_ldexp_f32 v27, v41, v48
	v_cmp_ngt_f32_e32 vcc, s8, v39
	v_add_u32_e32 v48, 0x60, v47
	s_nop 0
	v_cndmask_b32_e32 v27, 0, v27, vcc
	v_cmp_nlt_f32_e32 vcc, s9, v39
	s_nop 1
	v_cndmask_b32_e32 v39, v175, v27, vcc
	v_pk_add_f32 v[38:39], v[38:39], 1.0 op_sel_hi:[1,0]
	s_nop 0
	v_frexp_mant_f32_e32 v27, v38
	v_rcp_f32_e32 v27, v27
	v_frexp_mant_f32_e32 v40, v39
	v_frexp_exp_i32_f32_e32 v38, v38
	v_rcp_f32_e32 v40, v40
	v_sub_u32_e32 v38, 0, v38
	v_ldexp_f32 v38, v27, v38
	v_frexp_exp_i32_f32_e32 v27, v39
	v_sub_u32_e32 v27, 0, v27
	v_ldexp_f32 v39, v40, v27
	v_pk_mul_f32 v[28:29], v[28:29], v[38:39]
	s_nop 0
	v_cvt_pk_f16_f32 v27, v28, v29
	buffer_store_dwordx2 v[26:27], v64, s[12:15], 0 offen offset:128
	s_waitcnt lgkmcnt(0)
	s_barrier
	ds_write2_b32 v177, v18, v19 offset1:32
	ds_write2_b32 v177, v20, v21 offset0:64 offset1:96
	v_lshlrev_b32_e32 v18, 1, v48
	s_waitcnt lgkmcnt(0)
	s_barrier
	buffer_load_dwordx2 v[26:27], v18, s[0:3], 0 offen
	v_lshlrev_b32_e32 v18, 1, v49
	buffer_load_dwordx2 v[28:29], v18, s[4:7], 0 offen
	ds_read_b128 v[18:21], v1
	s_waitcnt vmcnt(1)
	v_cvt_f32_f16_e32 v38, v26
	v_cvt_f32_f16_sdwa v39, v26 dst_sel:DWORD dst_unused:UNUSED_PAD src0_sel:WORD_1
	s_waitcnt vmcnt(0)
	v_cvt_f32_f16_e32 v40, v28
	v_cvt_f32_f16_sdwa v41, v28 dst_sel:DWORD dst_unused:UNUSED_PAD src0_sel:WORD_1
	s_waitcnt lgkmcnt(0)
	v_pk_add_f32 v[18:19], v[18:19], v[38:39]
	s_nop 0
	v_pk_add_f32 v[18:19], v[18:19], v[40:41]
	s_nop 0
	v_mul_f32_e32 v26, 0x3d92220c, v18
	v_fma_f32 v26, -v18, v26, s10
	v_mul_f32_e32 v26, v18, v26
	v_mul_f32_e32 v28, 0x3fb8aa3b, v26
	v_fma_f32 v38, v26, s11, -v28
	v_rndne_f32_e32 v39, v28
	v_fmac_f32_e32 v38, 0x32a5705f, v26
	v_sub_f32_e32 v28, v28, v39
	v_add_f32_e32 v28, v28, v38
	v_exp_f32_e32 v28, v28
	v_cvt_i32_f32_e32 v38, v39
	v_cmp_ngt_f32_e32 vcc, s8, v26
	v_ldexp_f32 v28, v28, v38
	v_mul_f32_e32 v38, 0x3d92220c, v19
	v_fma_f32 v38, -v19, v38, s10
	v_mul_f32_e32 v39, v19, v38
	v_mul_f32_e32 v38, 0x3fb8aa3b, v39
	v_fma_f32 v40, v39, s11, -v38
	v_rndne_f32_e32 v41, v38
	v_fmac_f32_e32 v40, 0x32a5705f, v39
	v_sub_f32_e32 v38, v38, v41
	v_add_f32_e32 v38, v38, v40
	v_exp_f32_e32 v40, v38
	v_cvt_i32_f32_e32 v41, v41
	v_cndmask_b32_e32 v28, 0, v28, vcc
	v_cmp_nlt_f32_e32 vcc, s9, v26
	v_ldexp_f32 v26, v40, v41
	s_nop 0
	v_cndmask_b32_e32 v38, v175, v28, vcc
	v_cmp_ngt_f32_e32 vcc, s8, v39
	v_add_u32_e32 v40, 0x60, v0
	v_add_lshl_u32 v0, v0, s16, 1
	v_cndmask_b32_e32 v26, 0, v26, vcc
	v_cmp_nlt_f32_e32 vcc, s9, v39
	s_nop 1
	v_cndmask_b32_e32 v39, v175, v26, vcc
	v_pk_add_f32 v[38:39], v[38:39], 1.0 op_sel_hi:[1,0]
	s_nop 0
	v_frexp_mant_f32_e32 v26, v38
	v_rcp_f32_e32 v26, v26
	v_frexp_exp_i32_f32_e32 v28, v38
	v_sub_u32_e32 v28, 0, v28
	v_frexp_mant_f32_e32 v41, v39
	v_frexp_exp_i32_f32_e32 v50, v39
	v_cvt_f32_f16_e32 v38, v27
	v_cvt_f32_f16_sdwa v39, v27 dst_sel:DWORD dst_unused:UNUSED_PAD src0_sel:WORD_1
	v_ldexp_f32 v26, v26, v28
	v_cvt_f32_f16_e32 v28, v29
	v_cvt_f32_f16_sdwa v29, v29 dst_sel:DWORD dst_unused:UNUSED_PAD src0_sel:WORD_1
	v_pk_add_f32 v[20:21], v[20:21], v[38:39]
	v_rcp_f32_e32 v41, v41
	v_sub_u32_e32 v27, 0, v50
	v_pk_add_f32 v[20:21], v[20:21], v[28:29]
	v_ldexp_f32 v27, v41, v27
	v_mul_f32_e32 v28, 0x3d92220c, v20
	v_fma_f32 v28, -v20, v28, s10
	v_mul_f32_e32 v28, v20, v28
	v_mul_f32_e32 v29, 0x3fb8aa3b, v28
	v_fma_f32 v38, v28, s11, -v29
	v_rndne_f32_e32 v39, v29
	v_fmac_f32_e32 v38, 0x32a5705f, v28
	v_sub_f32_e32 v29, v29, v39
	v_add_f32_e32 v29, v29, v38
	v_exp_f32_e32 v29, v29
	v_cvt_i32_f32_e32 v38, v39
	v_pk_mul_f32 v[18:19], v[18:19], v[26:27]
	v_mul_f32_e32 v26, 0x3d92220c, v21
	v_fma_f32 v26, -v21, v26, s10
	v_mul_f32_e32 v27, v21, v26
	v_mul_f32_e32 v26, 0x3fb8aa3b, v27
	v_cvt_pk_f16_f32 v18, v18, v19
	v_ldexp_f32 v19, v29, v38
	v_fma_f32 v29, v27, s11, -v26
	v_rndne_f32_e32 v38, v26
	v_fmac_f32_e32 v29, 0x32a5705f, v27
	v_sub_f32_e32 v26, v26, v38
	v_add_f32_e32 v26, v26, v29
	v_exp_f32_e32 v29, v26
	v_cvt_i32_f32_e32 v38, v38
	v_cmp_ngt_f32_e32 vcc, s8, v28
	v_add_lshl_u32 v39, v49, s17, 1
	s_nop 0
	v_cndmask_b32_e32 v19, 0, v19, vcc
	v_cmp_nlt_f32_e32 vcc, s9, v28
	s_nop 1
	v_cndmask_b32_e32 v26, v175, v19, vcc
	v_ldexp_f32 v19, v29, v38
	v_cmp_ngt_f32_e32 vcc, s8, v27
	v_add_lshl_u32 v38, v48, s18, 1
	s_nop 0
	v_cndmask_b32_e32 v19, 0, v19, vcc
	v_cmp_nlt_f32_e32 vcc, s9, v27
	s_nop 1
	v_cndmask_b32_e32 v27, v175, v19, vcc
	v_pk_add_f32 v[26:27], v[26:27], 1.0 op_sel_hi:[1,0]
	s_nop 0
	v_frexp_mant_f32_e32 v19, v26
	v_rcp_f32_e32 v19, v19
	v_frexp_mant_f32_e32 v28, v27
	v_frexp_exp_i32_f32_e32 v26, v26
	v_rcp_f32_e32 v28, v28
	v_sub_u32_e32 v26, 0, v26
	v_ldexp_f32 v26, v19, v26
	v_frexp_exp_i32_f32_e32 v19, v27
	v_sub_u32_e32 v19, 0, v19
	v_ldexp_f32 v27, v28, v19
	v_pk_mul_f32 v[20:21], v[20:21], v[26:27]
	s_nop 0
	v_cvt_pk_f16_f32 v19, v20, v21
	v_lshlrev_b32_e32 v20, 1, v40
	buffer_store_dwordx2 v[18:19], v20, s[12:15], 0 offen
	s_waitcnt lgkmcnt(0)
	s_barrier
	ds_write2_b32 v177, v14, v15 offset1:32
	ds_write2_b32 v177, v16, v17 offset0:64 offset1:96
	s_waitcnt lgkmcnt(0)
	s_barrier
	buffer_load_dwordx2 v[18:19], v38, s[0:3], 0 offen
	buffer_load_dwordx2 v[20:21], v39, s[4:7], 0 offen
	ds_read_b128 v[14:17], v1
	s_waitcnt vmcnt(1)
	v_cvt_f32_f16_e32 v26, v18
	v_cvt_f32_f16_sdwa v27, v18 dst_sel:DWORD dst_unused:UNUSED_PAD src0_sel:WORD_1
	s_waitcnt vmcnt(0)
	v_cvt_f32_f16_e32 v28, v20
	v_cvt_f32_f16_sdwa v29, v20 dst_sel:DWORD dst_unused:UNUSED_PAD src0_sel:WORD_1
	s_waitcnt lgkmcnt(0)
	v_pk_add_f32 v[14:15], v[14:15], v[26:27]
	s_nop 0
	v_pk_add_f32 v[14:15], v[14:15], v[28:29]
	s_nop 0
	v_mul_f32_e32 v18, 0x3d92220c, v14
	v_fma_f32 v18, -v14, v18, s10
	v_mul_f32_e32 v18, v14, v18
	v_mul_f32_e32 v20, 0x3fb8aa3b, v18
	v_fma_f32 v26, v18, s11, -v20
	v_rndne_f32_e32 v27, v20
	v_fmac_f32_e32 v26, 0x32a5705f, v18
	v_sub_f32_e32 v20, v20, v27
	v_add_f32_e32 v20, v20, v26
	v_exp_f32_e32 v20, v20
	v_cvt_i32_f32_e32 v26, v27
	v_cmp_ngt_f32_e32 vcc, s8, v18
	v_ldexp_f32 v20, v20, v26
	v_mul_f32_e32 v26, 0x3d92220c, v15
	v_fma_f32 v26, -v15, v26, s10
	v_mul_f32_e32 v27, v15, v26
	v_mul_f32_e32 v26, 0x3fb8aa3b, v27
	v_fma_f32 v28, v27, s11, -v26
	v_rndne_f32_e32 v29, v26
	v_fmac_f32_e32 v28, 0x32a5705f, v27
	v_sub_f32_e32 v26, v26, v29
	v_add_f32_e32 v26, v26, v28
	v_exp_f32_e32 v28, v26
	v_cvt_i32_f32_e32 v29, v29
	v_cndmask_b32_e32 v20, 0, v20, vcc
	v_cmp_nlt_f32_e32 vcc, s9, v18
	v_ldexp_f32 v18, v28, v29
	s_nop 0
	v_cndmask_b32_e32 v26, v175, v20, vcc
	v_cmp_ngt_f32_e32 vcc, s8, v27
	s_nop 1
	v_cndmask_b32_e32 v18, 0, v18, vcc
	v_cmp_nlt_f32_e32 vcc, s9, v27
	s_nop 1
	v_cndmask_b32_e32 v27, v175, v18, vcc
	v_pk_add_f32 v[26:27], v[26:27], 1.0 op_sel_hi:[1,0]
	s_nop 0
	v_frexp_mant_f32_e32 v18, v26
	v_rcp_f32_e32 v18, v18
	v_frexp_exp_i32_f32_e32 v20, v26
	v_sub_u32_e32 v20, 0, v20
	v_frexp_mant_f32_e32 v28, v27
	v_frexp_exp_i32_f32_e32 v29, v27
	v_cvt_f32_f16_e32 v26, v19
	v_cvt_f32_f16_sdwa v27, v19 dst_sel:DWORD dst_unused:UNUSED_PAD src0_sel:WORD_1
	v_ldexp_f32 v18, v18, v20
	v_cvt_f32_f16_e32 v20, v21
	v_cvt_f32_f16_sdwa v21, v21 dst_sel:DWORD dst_unused:UNUSED_PAD src0_sel:WORD_1
	v_pk_add_f32 v[16:17], v[16:17], v[26:27]
	v_rcp_f32_e32 v28, v28
	v_sub_u32_e32 v19, 0, v29
	v_pk_add_f32 v[16:17], v[16:17], v[20:21]
	v_ldexp_f32 v19, v28, v19
	v_mul_f32_e32 v20, 0x3d92220c, v16
	v_fma_f32 v20, -v16, v20, s10
	v_mul_f32_e32 v20, v16, v20
	v_mul_f32_e32 v21, 0x3fb8aa3b, v20
	v_fma_f32 v26, v20, s11, -v21
	v_rndne_f32_e32 v27, v21
	v_fmac_f32_e32 v26, 0x32a5705f, v20
	v_sub_f32_e32 v21, v21, v27
	v_add_f32_e32 v21, v21, v26
	v_exp_f32_e32 v21, v21
	v_cvt_i32_f32_e32 v26, v27
	v_pk_mul_f32 v[14:15], v[14:15], v[18:19]
	v_mul_f32_e32 v18, 0x3d92220c, v17
	v_fma_f32 v18, -v17, v18, s10
	v_mul_f32_e32 v19, v17, v18
	v_mul_f32_e32 v18, 0x3fb8aa3b, v19
	v_cvt_pk_f16_f32 v14, v14, v15
	v_ldexp_f32 v15, v21, v26
	v_fma_f32 v21, v19, s11, -v18
	v_rndne_f32_e32 v26, v18
	v_fmac_f32_e32 v21, 0x32a5705f, v19
	v_sub_f32_e32 v18, v18, v26
	v_add_f32_e32 v18, v18, v21
	v_exp_f32_e32 v21, v18
	v_cvt_i32_f32_e32 v26, v26
	v_cmp_ngt_f32_e32 vcc, s8, v20
	s_nop 1
	v_cndmask_b32_e32 v15, 0, v15, vcc
	v_cmp_nlt_f32_e32 vcc, s9, v20
	s_nop 1
	v_cndmask_b32_e32 v18, v175, v15, vcc
	v_ldexp_f32 v15, v21, v26
	v_cmp_ngt_f32_e32 vcc, s8, v19
	v_add_lshl_u32 v26, v40, s16, 1
	s_nop 0
	v_cndmask_b32_e32 v15, 0, v15, vcc
	v_cmp_nlt_f32_e32 vcc, s9, v19
	s_nop 1
	v_cndmask_b32_e32 v19, v175, v15, vcc
	v_pk_add_f32 v[18:19], v[18:19], 1.0 op_sel_hi:[1,0]
	s_nop 0
	v_frexp_mant_f32_e32 v15, v18
	v_rcp_f32_e32 v15, v15
	v_frexp_mant_f32_e32 v20, v19
	v_frexp_exp_i32_f32_e32 v18, v18
	v_rcp_f32_e32 v20, v20
	v_sub_u32_e32 v18, 0, v18
	v_ldexp_f32 v18, v15, v18
	v_frexp_exp_i32_f32_e32 v15, v19
	v_sub_u32_e32 v15, 0, v15
	v_ldexp_f32 v19, v20, v15
	v_pk_mul_f32 v[16:17], v[16:17], v[18:19]
	s_nop 0
	v_cvt_pk_f16_f32 v15, v16, v17
	buffer_store_dwordx2 v[14:15], v26, s[12:15], 0 offen
	s_waitcnt lgkmcnt(0)
	s_barrier
	ds_write2_b32 v177, v10, v11 offset1:32
	ds_write2_b32 v177, v12, v13 offset0:64 offset1:96
	v_subrev_u32_e32 v10, 64, v38
	s_waitcnt lgkmcnt(0)
	s_barrier
	buffer_load_dwordx2 v[14:15], v10, s[0:3], 0 offen
	v_subrev_u32_e32 v10, 64, v39
	buffer_load_dwordx2 v[16:17], v10, s[4:7], 0 offen
	ds_read_b128 v[10:13], v1
	s_waitcnt vmcnt(1)
	v_cvt_f32_f16_e32 v18, v14
	v_cvt_f32_f16_sdwa v19, v14 dst_sel:DWORD dst_unused:UNUSED_PAD src0_sel:WORD_1
	s_waitcnt vmcnt(0)
	v_cvt_f32_f16_e32 v20, v16
	v_cvt_f32_f16_sdwa v21, v16 dst_sel:DWORD dst_unused:UNUSED_PAD src0_sel:WORD_1
	s_waitcnt lgkmcnt(0)
	v_pk_add_f32 v[10:11], v[10:11], v[18:19]
	s_nop 0
	v_pk_add_f32 v[10:11], v[10:11], v[20:21]
	s_nop 0
	v_mul_f32_e32 v14, 0x3d92220c, v10
	v_fma_f32 v14, -v10, v14, s10
	v_mul_f32_e32 v14, v10, v14
	v_mul_f32_e32 v16, 0x3fb8aa3b, v14
	v_fma_f32 v18, v14, s11, -v16
	v_rndne_f32_e32 v19, v16
	v_fmac_f32_e32 v18, 0x32a5705f, v14
	v_sub_f32_e32 v16, v16, v19
	v_add_f32_e32 v16, v16, v18
	v_exp_f32_e32 v16, v16
	v_cvt_i32_f32_e32 v18, v19
	v_cmp_ngt_f32_e32 vcc, s8, v14
	v_ldexp_f32 v16, v16, v18
	v_mul_f32_e32 v18, 0x3d92220c, v11
	v_fma_f32 v18, -v11, v18, s10
	v_mul_f32_e32 v19, v11, v18
	v_mul_f32_e32 v18, 0x3fb8aa3b, v19
	v_fma_f32 v20, v19, s11, -v18
	v_rndne_f32_e32 v21, v18
	v_fmac_f32_e32 v20, 0x32a5705f, v19
	v_sub_f32_e32 v18, v18, v21
	v_add_f32_e32 v18, v18, v20
	v_exp_f32_e32 v20, v18
	v_cvt_i32_f32_e32 v21, v21
	v_cndmask_b32_e32 v16, 0, v16, vcc
	v_cmp_nlt_f32_e32 vcc, s9, v14
	v_ldexp_f32 v14, v20, v21
	s_nop 0
	v_cndmask_b32_e32 v18, v175, v16, vcc
	v_cmp_ngt_f32_e32 vcc, s8, v19
	s_nop 1
	v_cndmask_b32_e32 v14, 0, v14, vcc
	v_cmp_nlt_f32_e32 vcc, s9, v19
	s_nop 1
	v_cndmask_b32_e32 v19, v175, v14, vcc
	v_pk_add_f32 v[18:19], v[18:19], 1.0 op_sel_hi:[1,0]
	s_nop 0
	v_frexp_mant_f32_e32 v14, v18
	v_rcp_f32_e32 v14, v14
	v_frexp_exp_i32_f32_e32 v16, v18
	v_sub_u32_e32 v16, 0, v16
	v_frexp_mant_f32_e32 v20, v19
	v_frexp_exp_i32_f32_e32 v21, v19
	v_cvt_f32_f16_e32 v18, v15
	v_cvt_f32_f16_sdwa v19, v15 dst_sel:DWORD dst_unused:UNUSED_PAD src0_sel:WORD_1
	v_ldexp_f32 v14, v14, v16
	v_cvt_f32_f16_e32 v16, v17
	v_cvt_f32_f16_sdwa v17, v17 dst_sel:DWORD dst_unused:UNUSED_PAD src0_sel:WORD_1
	v_pk_add_f32 v[12:13], v[12:13], v[18:19]
	v_rcp_f32_e32 v20, v20
	v_sub_u32_e32 v15, 0, v21
	v_pk_add_f32 v[12:13], v[12:13], v[16:17]
	v_ldexp_f32 v15, v20, v15
	v_mul_f32_e32 v16, 0x3d92220c, v12
	v_fma_f32 v16, -v12, v16, s10
	v_mul_f32_e32 v16, v12, v16
	v_mul_f32_e32 v17, 0x3fb8aa3b, v16
	v_fma_f32 v18, v16, s11, -v17
	v_rndne_f32_e32 v19, v17
	v_fmac_f32_e32 v18, 0x32a5705f, v16
	v_sub_f32_e32 v17, v17, v19
	v_add_f32_e32 v17, v17, v18
	v_exp_f32_e32 v17, v17
	v_cvt_i32_f32_e32 v18, v19
	v_pk_mul_f32 v[10:11], v[10:11], v[14:15]
	v_mul_f32_e32 v14, 0x3d92220c, v13
	v_fma_f32 v14, -v13, v14, s10
	v_mul_f32_e32 v15, v13, v14
	v_mul_f32_e32 v14, 0x3fb8aa3b, v15
	v_cvt_pk_f16_f32 v10, v10, v11
	v_ldexp_f32 v11, v17, v18
	v_fma_f32 v17, v15, s11, -v14
	v_rndne_f32_e32 v18, v14
	v_fmac_f32_e32 v17, 0x32a5705f, v15
	v_sub_f32_e32 v14, v14, v18
	v_add_f32_e32 v14, v14, v17
	v_exp_f32_e32 v17, v14
	v_cvt_i32_f32_e32 v18, v18
	v_cmp_ngt_f32_e32 vcc, s8, v16
	s_nop 1
	v_cndmask_b32_e32 v11, 0, v11, vcc
	v_cmp_nlt_f32_e32 vcc, s9, v16
	s_nop 1
	v_cndmask_b32_e32 v14, v175, v11, vcc
	v_ldexp_f32 v11, v17, v18
	v_cmp_ngt_f32_e32 vcc, s8, v15
	s_nop 1
	v_cndmask_b32_e32 v11, 0, v11, vcc
	v_cmp_nlt_f32_e32 vcc, s9, v15
	s_nop 1
	v_cndmask_b32_e32 v15, v175, v11, vcc
	v_pk_add_f32 v[14:15], v[14:15], 1.0 op_sel_hi:[1,0]
	s_nop 0
	v_frexp_mant_f32_e32 v11, v14
	v_rcp_f32_e32 v11, v11
	v_frexp_mant_f32_e32 v16, v15
	v_frexp_exp_i32_f32_e32 v14, v14
	v_rcp_f32_e32 v16, v16
	v_sub_u32_e32 v14, 0, v14
	v_ldexp_f32 v14, v11, v14
	v_frexp_exp_i32_f32_e32 v11, v15
	v_sub_u32_e32 v11, 0, v11
	v_ldexp_f32 v15, v16, v11
	v_pk_mul_f32 v[12:13], v[12:13], v[14:15]
	s_nop 0
	v_cvt_pk_f16_f32 v11, v12, v13
	v_subrev_u32_e32 v12, 64, v26
	buffer_store_dwordx2 v[10:11], v12, s[12:15], 0 offen
	s_waitcnt lgkmcnt(0)
	s_barrier
	ds_write2_b32 v177, v6, v7 offset1:32
	ds_write2_b32 v177, v8, v9 offset0:64 offset1:96
	v_add_u32_e32 v6, 0xffffff80, v38
	s_waitcnt lgkmcnt(0)
	s_barrier
	buffer_load_dwordx2 v[10:11], v6, s[0:3], 0 offen
	v_add_u32_e32 v6, 0xffffff80, v39
	buffer_load_dwordx2 v[12:13], v6, s[4:7], 0 offen
	ds_read_b128 v[6:9], v1
	s_waitcnt vmcnt(1)
	v_cvt_f32_f16_e32 v14, v10
	v_cvt_f32_f16_sdwa v15, v10 dst_sel:DWORD dst_unused:UNUSED_PAD src0_sel:WORD_1
	s_waitcnt vmcnt(0)
	v_cvt_f32_f16_e32 v16, v12
	v_cvt_f32_f16_sdwa v17, v12 dst_sel:DWORD dst_unused:UNUSED_PAD src0_sel:WORD_1
	s_waitcnt lgkmcnt(0)
	v_pk_add_f32 v[6:7], v[6:7], v[14:15]
	s_nop 0
	v_pk_add_f32 v[6:7], v[6:7], v[16:17]
	s_nop 0
	v_mul_f32_e32 v10, 0x3d92220c, v6
	v_fma_f32 v10, -v6, v10, s10
	v_mul_f32_e32 v10, v6, v10
	v_mul_f32_e32 v12, 0x3fb8aa3b, v10
	v_fma_f32 v14, v10, s11, -v12
	v_rndne_f32_e32 v15, v12
	v_fmac_f32_e32 v14, 0x32a5705f, v10
	v_sub_f32_e32 v12, v12, v15
	v_add_f32_e32 v12, v12, v14
	v_exp_f32_e32 v12, v12
	v_cvt_i32_f32_e32 v14, v15
	v_cmp_ngt_f32_e32 vcc, s8, v10
	v_ldexp_f32 v12, v12, v14
	v_mul_f32_e32 v14, 0x3d92220c, v7
	v_fma_f32 v14, -v7, v14, s10
	v_mul_f32_e32 v15, v7, v14
	v_mul_f32_e32 v14, 0x3fb8aa3b, v15
	v_fma_f32 v16, v15, s11, -v14
	v_rndne_f32_e32 v17, v14
	v_fmac_f32_e32 v16, 0x32a5705f, v15
	v_sub_f32_e32 v14, v14, v17
	v_add_f32_e32 v14, v14, v16
	v_exp_f32_e32 v16, v14
	v_cvt_i32_f32_e32 v17, v17
	v_cndmask_b32_e32 v12, 0, v12, vcc
	v_cmp_nlt_f32_e32 vcc, s9, v10
	v_ldexp_f32 v10, v16, v17
	s_nop 0
	v_cndmask_b32_e32 v14, v175, v12, vcc
	v_cmp_ngt_f32_e32 vcc, s8, v15
	s_nop 1
	v_cndmask_b32_e32 v10, 0, v10, vcc
	v_cmp_nlt_f32_e32 vcc, s9, v15
	s_nop 1
	v_cndmask_b32_e32 v15, v175, v10, vcc
	v_pk_add_f32 v[14:15], v[14:15], 1.0 op_sel_hi:[1,0]
	s_nop 0
	v_frexp_mant_f32_e32 v10, v14
	v_rcp_f32_e32 v10, v10
	v_frexp_exp_i32_f32_e32 v12, v14
	v_sub_u32_e32 v12, 0, v12
	v_frexp_mant_f32_e32 v16, v15
	v_frexp_exp_i32_f32_e32 v17, v15
	v_cvt_f32_f16_e32 v14, v11
	v_cvt_f32_f16_sdwa v15, v11 dst_sel:DWORD dst_unused:UNUSED_PAD src0_sel:WORD_1
	v_ldexp_f32 v10, v10, v12
	v_cvt_f32_f16_e32 v12, v13
	v_cvt_f32_f16_sdwa v13, v13 dst_sel:DWORD dst_unused:UNUSED_PAD src0_sel:WORD_1
	v_pk_add_f32 v[8:9], v[8:9], v[14:15]
	v_rcp_f32_e32 v16, v16
	v_sub_u32_e32 v11, 0, v17
	v_pk_add_f32 v[8:9], v[8:9], v[12:13]
	v_ldexp_f32 v11, v16, v11
	v_mul_f32_e32 v12, 0x3d92220c, v8
	v_fma_f32 v12, -v8, v12, s10
	v_mul_f32_e32 v12, v8, v12
	v_mul_f32_e32 v13, 0x3fb8aa3b, v12
	v_fma_f32 v14, v12, s11, -v13
	v_rndne_f32_e32 v15, v13
	v_fmac_f32_e32 v14, 0x32a5705f, v12
	v_sub_f32_e32 v13, v13, v15
	v_add_f32_e32 v13, v13, v14
	v_exp_f32_e32 v13, v13
	v_cvt_i32_f32_e32 v14, v15
	v_pk_mul_f32 v[6:7], v[6:7], v[10:11]
	v_mul_f32_e32 v10, 0x3d92220c, v9
	v_fma_f32 v10, -v9, v10, s10
	v_mul_f32_e32 v11, v9, v10
	v_mul_f32_e32 v10, 0x3fb8aa3b, v11
	v_cvt_pk_f16_f32 v6, v6, v7
	v_ldexp_f32 v7, v13, v14
	v_fma_f32 v13, v11, s11, -v10
	v_rndne_f32_e32 v14, v10
	v_fmac_f32_e32 v13, 0x32a5705f, v11
	v_sub_f32_e32 v10, v10, v14
	v_add_f32_e32 v10, v10, v13
	v_exp_f32_e32 v13, v10
	v_cvt_i32_f32_e32 v14, v14
	v_cmp_ngt_f32_e32 vcc, s8, v12
	s_nop 1
	v_cndmask_b32_e32 v7, 0, v7, vcc
	v_cmp_nlt_f32_e32 vcc, s9, v12
	s_nop 1
	v_cndmask_b32_e32 v10, v175, v7, vcc
	v_ldexp_f32 v7, v13, v14
	v_cmp_ngt_f32_e32 vcc, s8, v11
	s_nop 1
	v_cndmask_b32_e32 v7, 0, v7, vcc
	v_cmp_nlt_f32_e32 vcc, s9, v11
	s_nop 1
	v_cndmask_b32_e32 v11, v175, v7, vcc
	v_pk_add_f32 v[10:11], v[10:11], 1.0 op_sel_hi:[1,0]
	s_nop 0
	v_frexp_mant_f32_e32 v7, v10
	v_rcp_f32_e32 v7, v7
	v_frexp_mant_f32_e32 v12, v11
	v_frexp_exp_i32_f32_e32 v10, v10
	v_rcp_f32_e32 v12, v12
	v_sub_u32_e32 v10, 0, v10
	v_ldexp_f32 v10, v7, v10
	v_frexp_exp_i32_f32_e32 v7, v11
	v_sub_u32_e32 v7, 0, v7
	v_ldexp_f32 v11, v12, v7
	v_pk_mul_f32 v[8:9], v[8:9], v[10:11]
	s_nop 0
	v_cvt_pk_f16_f32 v7, v8, v9
	v_add_u32_e32 v8, 0xffffff80, v26
	buffer_store_dwordx2 v[6:7], v8, s[12:15], 0 offen
	s_waitcnt lgkmcnt(0)
	s_barrier
	ds_write2_b32 v177, v2, v3 offset1:32
	ds_write2_b32 v177, v4, v5 offset0:64 offset1:96
	v_add_lshl_u32 v2, v47, s18, 1
	s_waitcnt lgkmcnt(0)
	s_barrier
	buffer_load_dwordx2 v[6:7], v2, s[0:3], 0 offen
	v_add_lshl_u32 v2, v46, s17, 1
	buffer_load_dwordx2 v[8:9], v2, s[4:7], 0 offen
	ds_read_b128 v[2:5], v1
	s_waitcnt vmcnt(1)
	v_cvt_f32_f16_e32 v10, v6
	v_cvt_f32_f16_sdwa v11, v6 dst_sel:DWORD dst_unused:UNUSED_PAD src0_sel:WORD_1
	s_waitcnt vmcnt(0)
	v_cvt_f32_f16_e32 v12, v8
	v_cvt_f32_f16_sdwa v13, v8 dst_sel:DWORD dst_unused:UNUSED_PAD src0_sel:WORD_1
	s_waitcnt lgkmcnt(0)
	v_pk_add_f32 v[2:3], v[2:3], v[10:11]
	s_nop 0
	v_pk_add_f32 v[2:3], v[2:3], v[12:13]
	s_nop 0
	v_mul_f32_e32 v1, 0x3d92220c, v2
	v_fma_f32 v1, -v2, v1, s10
	v_mul_f32_e32 v1, v2, v1
	v_mul_f32_e32 v6, 0x3fb8aa3b, v1
	v_fma_f32 v8, v1, s11, -v6
	v_rndne_f32_e32 v10, v6
	v_fmac_f32_e32 v8, 0x32a5705f, v1
	v_sub_f32_e32 v6, v6, v10
	v_add_f32_e32 v6, v6, v8
	v_exp_f32_e32 v6, v6
	v_cvt_i32_f32_e32 v8, v10
	v_cmp_ngt_f32_e32 vcc, s8, v1
	v_ldexp_f32 v6, v6, v8
	v_mul_f32_e32 v8, 0x3d92220c, v3
	v_fma_f32 v8, -v3, v8, s10
	v_mul_f32_e32 v8, v3, v8
	v_mul_f32_e32 v10, 0x3fb8aa3b, v8
	v_fma_f32 v11, v8, s11, -v10
	v_rndne_f32_e32 v12, v10
	v_fmac_f32_e32 v11, 0x32a5705f, v8
	v_sub_f32_e32 v10, v10, v12
	v_add_f32_e32 v10, v10, v11
	v_exp_f32_e32 v11, v10
	v_cvt_i32_f32_e32 v12, v12
	v_cndmask_b32_e32 v6, 0, v6, vcc
	v_cmp_nlt_f32_e32 vcc, s9, v1
	v_ldexp_f32 v1, v11, v12
	s_nop 0
	v_cndmask_b32_e32 v10, v175, v6, vcc
	v_cmp_ngt_f32_e32 vcc, s8, v8
	s_nop 1
	v_cndmask_b32_e32 v1, 0, v1, vcc
	v_cmp_nlt_f32_e32 vcc, s9, v8
	v_cvt_f32_f16_e32 v8, v9
	v_cvt_f32_f16_sdwa v9, v9 dst_sel:DWORD dst_unused:UNUSED_PAD src0_sel:WORD_1
	v_cndmask_b32_e32 v11, v175, v1, vcc
	v_pk_add_f32 v[10:11], v[10:11], 1.0 op_sel_hi:[1,0]
	s_nop 0
	v_frexp_mant_f32_e32 v1, v10
	v_rcp_f32_e32 v1, v1
	v_frexp_exp_i32_f32_e32 v6, v10
	v_sub_u32_e32 v6, 0, v6
	v_frexp_exp_i32_f32_e32 v12, v11
	v_ldexp_f32 v6, v1, v6
	v_frexp_mant_f32_e32 v1, v11
	v_cvt_f32_f16_e32 v10, v7
	v_cvt_f32_f16_sdwa v11, v7 dst_sel:DWORD dst_unused:UNUSED_PAD src0_sel:WORD_1
	v_rcp_f32_e32 v1, v1
	v_sub_u32_e32 v7, 0, v12
	v_pk_add_f32 v[4:5], v[4:5], v[10:11]
	s_nop 0
	v_pk_add_f32 v[4:5], v[4:5], v[8:9]
	v_ldexp_f32 v7, v1, v7
	v_mul_f32_e32 v8, 0x3d92220c, v4
	v_fma_f32 v8, -v4, v8, s10
	v_mul_f32_e32 v8, v4, v8
	v_mul_f32_e32 v9, 0x3fb8aa3b, v8
	v_fma_f32 v10, v8, s11, -v9
	v_rndne_f32_e32 v11, v9
	v_fmac_f32_e32 v10, 0x32a5705f, v8
	v_sub_f32_e32 v9, v9, v11
	v_add_f32_e32 v9, v9, v10
	v_pk_mul_f32 v[2:3], v[2:3], v[6:7]
	v_exp_f32_e32 v9, v9
	v_cvt_i32_f32_e32 v10, v11
	v_cvt_pk_f16_f32 v2, v2, v3
	v_mul_f32_e32 v3, 0x3d92220c, v5
	v_fma_f32 v3, -v5, v3, s10
	v_mul_f32_e32 v3, v5, v3
	v_mul_f32_e32 v6, 0x3fb8aa3b, v3
	v_ldexp_f32 v1, v9, v10
	v_fma_f32 v7, v3, s11, -v6
	v_rndne_f32_e32 v9, v6
	v_fmac_f32_e32 v7, 0x32a5705f, v3
	v_sub_f32_e32 v6, v6, v9
	v_add_f32_e32 v6, v6, v7
	v_exp_f32_e32 v7, v6
	v_cvt_i32_f32_e32 v9, v9
	v_cmp_ngt_f32_e32 vcc, s8, v8
	s_nop 1
	v_cndmask_b32_e32 v1, 0, v1, vcc
	v_cmp_nlt_f32_e32 vcc, s9, v8
	s_nop 1
	v_cndmask_b32_e32 v6, v175, v1, vcc
	v_ldexp_f32 v1, v7, v9
	v_cmp_ngt_f32_e32 vcc, s8, v3
	s_nop 1
	v_cndmask_b32_e32 v1, 0, v1, vcc
	v_cmp_nlt_f32_e32 vcc, s9, v3
	s_nop 1
	v_cndmask_b32_e32 v7, v175, v1, vcc
	v_pk_add_f32 v[6:7], v[6:7], 1.0 op_sel_hi:[1,0]
	s_nop 0
	v_frexp_mant_f32_e32 v1, v6
	v_rcp_f32_e32 v1, v1
	v_frexp_exp_i32_f32_e32 v3, v6
	v_frexp_mant_f32_e32 v6, v7
	v_rcp_f32_e32 v8, v6
	v_sub_u32_e32 v3, 0, v3
	v_ldexp_f32 v6, v1, v3
	v_frexp_exp_i32_f32_e32 v1, v7
	v_sub_u32_e32 v1, 0, v1
	v_ldexp_f32 v7, v8, v1
	v_pk_mul_f32 v[4:5], v[4:5], v[6:7]
	s_nop 0
	v_cvt_pk_f16_f32 v3, v4, v5
	buffer_store_dwordx2 v[2:3], v0, s[12:15], 0 offen
	s_endpgm
	.section	.rodata,"a",@progbits
	.p2align	6, 0x0
	.amdhsa_kernel _ZN2ck35kernel_gemm_multiple_d_xdl_cshuffleINS_34GridwiseGemmMultipleD_xdl_cshuffleIDF16_DF16_DF16_ffNS_5TupleIJDF16_DF16_EEEDF16_NS_16tensor_operation12element_wise11PassThroughES6_NS5_14AddAddFastGeluELi1ELi256ELi256ELi128ELi32ELi8ELi8ELi16ELi16ELi8ELi4ENS_8SequenceIJLi4ELi64ELi1EEEENS8_IJLi1ELi0ELi2EEEESA_Li2ELi8ELi8ELb0ELi1ES9_SA_SA_Li2ELi8ELi8ELb0ELi1ELi1ELi1ENS8_IJLi1ELi32ELi1ELi8EEEELi4ELNS_13LoopSchedulerE0ELNS_15PipelineVersionE0EDF16_Lb0EEEDF16_DF16_NS2_IJPKDF16_SG_EEEDF16_S6_S6_S7_NS_16TensorDescriptorINS2_IJNS_5EmbedINS2_IJiiEEENS2_IJiNS_17integral_constantIiLi1EEEEEELb0EEENS_11PassThroughIiEESQ_NS_7UnMergeINS2_IJiNSL_IiLi8EEEEEELb0EEESQ_EEENS2_IJNS8_IJLi0EEEENS8_IJLi1EEEENS8_IJLi2EEEENS8_IJLi4EEEENS8_IJLi3EEEEEEENS2_IJNS8_IJLi1ELi2EEEES10_SZ_NS8_IJLi5ELi6EEEENS8_IJLi7EEEEEEENS8_IJLi5ELi7ELi6EEEElEES17_NS2_IJNSI_INS2_IJSO_SQ_SQ_NSR_INS2_IJiNSL_IiLi256EEEEEELb0EEENSR_INS2_IJiNSL_IiLi128EEEEEELb0EEEEEENS2_IJSW_SX_SY_S10_SZ_EEENS2_IJS12_S10_SZ_S13_NS8_IJLi7ELi8EEEEEEENS8_IJLi5ELi6ELi7ELi8EEEElEES1J_EEES1J_NS_31BlockToCTileMap_M00_N0_M01AdaptILi256ELi128ENSI_INS2_IJSO_SQ_SQ_EEENS2_IJSW_SX_SY_EEENS2_IJS12_S10_SZ_EEENS8_IJLi3ELi4EEEElEEiEELb1EEEvPKT0_PKT1_T2_PT3_T4_T5_T6_T7_T8_T9_T10_T11_
		.amdhsa_group_segment_fixed_size 24672
		.amdhsa_private_segment_fixed_size 0
		.amdhsa_kernarg_size 364
		.amdhsa_user_sgpr_count 2
		.amdhsa_user_sgpr_dispatch_ptr 0
		.amdhsa_user_sgpr_queue_ptr 0
		.amdhsa_user_sgpr_kernarg_segment_ptr 1
		.amdhsa_user_sgpr_dispatch_id 0
		.amdhsa_user_sgpr_kernarg_preload_length 0
		.amdhsa_user_sgpr_kernarg_preload_offset 0
		.amdhsa_user_sgpr_private_segment_size 0
		.amdhsa_uses_dynamic_stack 0
		.amdhsa_enable_private_segment 0
		.amdhsa_system_sgpr_workgroup_id_x 1
		.amdhsa_system_sgpr_workgroup_id_y 0
		.amdhsa_system_sgpr_workgroup_id_z 0
		.amdhsa_system_sgpr_workgroup_info 0
		.amdhsa_system_vgpr_workitem_id 0
		.amdhsa_next_free_vgpr 195
		.amdhsa_next_free_sgpr 91
		.amdhsa_accum_offset 196
		.amdhsa_reserve_vcc 1
		.amdhsa_float_round_mode_32 0
		.amdhsa_float_round_mode_16_64 0
		.amdhsa_float_denorm_mode_32 3
		.amdhsa_float_denorm_mode_16_64 3
		.amdhsa_dx10_clamp 1
		.amdhsa_ieee_mode 1
		.amdhsa_fp16_overflow 0
		.amdhsa_tg_split 0
		.amdhsa_exception_fp_ieee_invalid_op 0
		.amdhsa_exception_fp_denorm_src 0
		.amdhsa_exception_fp_ieee_div_zero 0
		.amdhsa_exception_fp_ieee_overflow 0
		.amdhsa_exception_fp_ieee_underflow 0
		.amdhsa_exception_fp_ieee_inexact 0
		.amdhsa_exception_int_div_zero 0
	.end_amdhsa_kernel
	.section	.text._ZN2ck35kernel_gemm_multiple_d_xdl_cshuffleINS_34GridwiseGemmMultipleD_xdl_cshuffleIDF16_DF16_DF16_ffNS_5TupleIJDF16_DF16_EEEDF16_NS_16tensor_operation12element_wise11PassThroughES6_NS5_14AddAddFastGeluELi1ELi256ELi256ELi128ELi32ELi8ELi8ELi16ELi16ELi8ELi4ENS_8SequenceIJLi4ELi64ELi1EEEENS8_IJLi1ELi0ELi2EEEESA_Li2ELi8ELi8ELb0ELi1ES9_SA_SA_Li2ELi8ELi8ELb0ELi1ELi1ELi1ENS8_IJLi1ELi32ELi1ELi8EEEELi4ELNS_13LoopSchedulerE0ELNS_15PipelineVersionE0EDF16_Lb0EEEDF16_DF16_NS2_IJPKDF16_SG_EEEDF16_S6_S6_S7_NS_16TensorDescriptorINS2_IJNS_5EmbedINS2_IJiiEEENS2_IJiNS_17integral_constantIiLi1EEEEEELb0EEENS_11PassThroughIiEESQ_NS_7UnMergeINS2_IJiNSL_IiLi8EEEEEELb0EEESQ_EEENS2_IJNS8_IJLi0EEEENS8_IJLi1EEEENS8_IJLi2EEEENS8_IJLi4EEEENS8_IJLi3EEEEEEENS2_IJNS8_IJLi1ELi2EEEES10_SZ_NS8_IJLi5ELi6EEEENS8_IJLi7EEEEEEENS8_IJLi5ELi7ELi6EEEElEES17_NS2_IJNSI_INS2_IJSO_SQ_SQ_NSR_INS2_IJiNSL_IiLi256EEEEEELb0EEENSR_INS2_IJiNSL_IiLi128EEEEEELb0EEEEEENS2_IJSW_SX_SY_S10_SZ_EEENS2_IJS12_S10_SZ_S13_NS8_IJLi7ELi8EEEEEEENS8_IJLi5ELi6ELi7ELi8EEEElEES1J_EEES1J_NS_31BlockToCTileMap_M00_N0_M01AdaptILi256ELi128ENSI_INS2_IJSO_SQ_SQ_EEENS2_IJSW_SX_SY_EEENS2_IJS12_S10_SZ_EEENS8_IJLi3ELi4EEEElEEiEELb1EEEvPKT0_PKT1_T2_PT3_T4_T5_T6_T7_T8_T9_T10_T11_,"axG",@progbits,_ZN2ck35kernel_gemm_multiple_d_xdl_cshuffleINS_34GridwiseGemmMultipleD_xdl_cshuffleIDF16_DF16_DF16_ffNS_5TupleIJDF16_DF16_EEEDF16_NS_16tensor_operation12element_wise11PassThroughES6_NS5_14AddAddFastGeluELi1ELi256ELi256ELi128ELi32ELi8ELi8ELi16ELi16ELi8ELi4ENS_8SequenceIJLi4ELi64ELi1EEEENS8_IJLi1ELi0ELi2EEEESA_Li2ELi8ELi8ELb0ELi1ES9_SA_SA_Li2ELi8ELi8ELb0ELi1ELi1ELi1ENS8_IJLi1ELi32ELi1ELi8EEEELi4ELNS_13LoopSchedulerE0ELNS_15PipelineVersionE0EDF16_Lb0EEEDF16_DF16_NS2_IJPKDF16_SG_EEEDF16_S6_S6_S7_NS_16TensorDescriptorINS2_IJNS_5EmbedINS2_IJiiEEENS2_IJiNS_17integral_constantIiLi1EEEEEELb0EEENS_11PassThroughIiEESQ_NS_7UnMergeINS2_IJiNSL_IiLi8EEEEEELb0EEESQ_EEENS2_IJNS8_IJLi0EEEENS8_IJLi1EEEENS8_IJLi2EEEENS8_IJLi4EEEENS8_IJLi3EEEEEEENS2_IJNS8_IJLi1ELi2EEEES10_SZ_NS8_IJLi5ELi6EEEENS8_IJLi7EEEEEEENS8_IJLi5ELi7ELi6EEEElEES17_NS2_IJNSI_INS2_IJSO_SQ_SQ_NSR_INS2_IJiNSL_IiLi256EEEEEELb0EEENSR_INS2_IJiNSL_IiLi128EEEEEELb0EEEEEENS2_IJSW_SX_SY_S10_SZ_EEENS2_IJS12_S10_SZ_S13_NS8_IJLi7ELi8EEEEEEENS8_IJLi5ELi6ELi7ELi8EEEElEES1J_EEES1J_NS_31BlockToCTileMap_M00_N0_M01AdaptILi256ELi128ENSI_INS2_IJSO_SQ_SQ_EEENS2_IJSW_SX_SY_EEENS2_IJS12_S10_SZ_EEENS8_IJLi3ELi4EEEElEEiEELb1EEEvPKT0_PKT1_T2_PT3_T4_T5_T6_T7_T8_T9_T10_T11_,comdat
.Lfunc_end1:
	.size	_ZN2ck35kernel_gemm_multiple_d_xdl_cshuffleINS_34GridwiseGemmMultipleD_xdl_cshuffleIDF16_DF16_DF16_ffNS_5TupleIJDF16_DF16_EEEDF16_NS_16tensor_operation12element_wise11PassThroughES6_NS5_14AddAddFastGeluELi1ELi256ELi256ELi128ELi32ELi8ELi8ELi16ELi16ELi8ELi4ENS_8SequenceIJLi4ELi64ELi1EEEENS8_IJLi1ELi0ELi2EEEESA_Li2ELi8ELi8ELb0ELi1ES9_SA_SA_Li2ELi8ELi8ELb0ELi1ELi1ELi1ENS8_IJLi1ELi32ELi1ELi8EEEELi4ELNS_13LoopSchedulerE0ELNS_15PipelineVersionE0EDF16_Lb0EEEDF16_DF16_NS2_IJPKDF16_SG_EEEDF16_S6_S6_S7_NS_16TensorDescriptorINS2_IJNS_5EmbedINS2_IJiiEEENS2_IJiNS_17integral_constantIiLi1EEEEEELb0EEENS_11PassThroughIiEESQ_NS_7UnMergeINS2_IJiNSL_IiLi8EEEEEELb0EEESQ_EEENS2_IJNS8_IJLi0EEEENS8_IJLi1EEEENS8_IJLi2EEEENS8_IJLi4EEEENS8_IJLi3EEEEEEENS2_IJNS8_IJLi1ELi2EEEES10_SZ_NS8_IJLi5ELi6EEEENS8_IJLi7EEEEEEENS8_IJLi5ELi7ELi6EEEElEES17_NS2_IJNSI_INS2_IJSO_SQ_SQ_NSR_INS2_IJiNSL_IiLi256EEEEEELb0EEENSR_INS2_IJiNSL_IiLi128EEEEEELb0EEEEEENS2_IJSW_SX_SY_S10_SZ_EEENS2_IJS12_S10_SZ_S13_NS8_IJLi7ELi8EEEEEEENS8_IJLi5ELi6ELi7ELi8EEEElEES1J_EEES1J_NS_31BlockToCTileMap_M00_N0_M01AdaptILi256ELi128ENSI_INS2_IJSO_SQ_SQ_EEENS2_IJSW_SX_SY_EEENS2_IJS12_S10_SZ_EEENS8_IJLi3ELi4EEEElEEiEELb1EEEvPKT0_PKT1_T2_PT3_T4_T5_T6_T7_T8_T9_T10_T11_, .Lfunc_end1-_ZN2ck35kernel_gemm_multiple_d_xdl_cshuffleINS_34GridwiseGemmMultipleD_xdl_cshuffleIDF16_DF16_DF16_ffNS_5TupleIJDF16_DF16_EEEDF16_NS_16tensor_operation12element_wise11PassThroughES6_NS5_14AddAddFastGeluELi1ELi256ELi256ELi128ELi32ELi8ELi8ELi16ELi16ELi8ELi4ENS_8SequenceIJLi4ELi64ELi1EEEENS8_IJLi1ELi0ELi2EEEESA_Li2ELi8ELi8ELb0ELi1ES9_SA_SA_Li2ELi8ELi8ELb0ELi1ELi1ELi1ENS8_IJLi1ELi32ELi1ELi8EEEELi4ELNS_13LoopSchedulerE0ELNS_15PipelineVersionE0EDF16_Lb0EEEDF16_DF16_NS2_IJPKDF16_SG_EEEDF16_S6_S6_S7_NS_16TensorDescriptorINS2_IJNS_5EmbedINS2_IJiiEEENS2_IJiNS_17integral_constantIiLi1EEEEEELb0EEENS_11PassThroughIiEESQ_NS_7UnMergeINS2_IJiNSL_IiLi8EEEEEELb0EEESQ_EEENS2_IJNS8_IJLi0EEEENS8_IJLi1EEEENS8_IJLi2EEEENS8_IJLi4EEEENS8_IJLi3EEEEEEENS2_IJNS8_IJLi1ELi2EEEES10_SZ_NS8_IJLi5ELi6EEEENS8_IJLi7EEEEEEENS8_IJLi5ELi7ELi6EEEElEES17_NS2_IJNSI_INS2_IJSO_SQ_SQ_NSR_INS2_IJiNSL_IiLi256EEEEEELb0EEENSR_INS2_IJiNSL_IiLi128EEEEEELb0EEEEEENS2_IJSW_SX_SY_S10_SZ_EEENS2_IJS12_S10_SZ_S13_NS8_IJLi7ELi8EEEEEEENS8_IJLi5ELi6ELi7ELi8EEEElEES1J_EEES1J_NS_31BlockToCTileMap_M00_N0_M01AdaptILi256ELi128ENSI_INS2_IJSO_SQ_SQ_EEENS2_IJSW_SX_SY_EEENS2_IJS12_S10_SZ_EEENS8_IJLi3ELi4EEEElEEiEELb1EEEvPKT0_PKT1_T2_PT3_T4_T5_T6_T7_T8_T9_T10_T11_
                                        ; -- End function
	.set _ZN2ck35kernel_gemm_multiple_d_xdl_cshuffleINS_34GridwiseGemmMultipleD_xdl_cshuffleIDF16_DF16_DF16_ffNS_5TupleIJDF16_DF16_EEEDF16_NS_16tensor_operation12element_wise11PassThroughES6_NS5_14AddAddFastGeluELi1ELi256ELi256ELi128ELi32ELi8ELi8ELi16ELi16ELi8ELi4ENS_8SequenceIJLi4ELi64ELi1EEEENS8_IJLi1ELi0ELi2EEEESA_Li2ELi8ELi8ELb0ELi1ES9_SA_SA_Li2ELi8ELi8ELb0ELi1ELi1ELi1ENS8_IJLi1ELi32ELi1ELi8EEEELi4ELNS_13LoopSchedulerE0ELNS_15PipelineVersionE0EDF16_Lb0EEEDF16_DF16_NS2_IJPKDF16_SG_EEEDF16_S6_S6_S7_NS_16TensorDescriptorINS2_IJNS_5EmbedINS2_IJiiEEENS2_IJiNS_17integral_constantIiLi1EEEEEELb0EEENS_11PassThroughIiEESQ_NS_7UnMergeINS2_IJiNSL_IiLi8EEEEEELb0EEESQ_EEENS2_IJNS8_IJLi0EEEENS8_IJLi1EEEENS8_IJLi2EEEENS8_IJLi4EEEENS8_IJLi3EEEEEEENS2_IJNS8_IJLi1ELi2EEEES10_SZ_NS8_IJLi5ELi6EEEENS8_IJLi7EEEEEEENS8_IJLi5ELi7ELi6EEEElEES17_NS2_IJNSI_INS2_IJSO_SQ_SQ_NSR_INS2_IJiNSL_IiLi256EEEEEELb0EEENSR_INS2_IJiNSL_IiLi128EEEEEELb0EEEEEENS2_IJSW_SX_SY_S10_SZ_EEENS2_IJS12_S10_SZ_S13_NS8_IJLi7ELi8EEEEEEENS8_IJLi5ELi6ELi7ELi8EEEElEES1J_EEES1J_NS_31BlockToCTileMap_M00_N0_M01AdaptILi256ELi128ENSI_INS2_IJSO_SQ_SQ_EEENS2_IJSW_SX_SY_EEENS2_IJS12_S10_SZ_EEENS8_IJLi3ELi4EEEElEEiEELb1EEEvPKT0_PKT1_T2_PT3_T4_T5_T6_T7_T8_T9_T10_T11_.num_vgpr, 195
	.set _ZN2ck35kernel_gemm_multiple_d_xdl_cshuffleINS_34GridwiseGemmMultipleD_xdl_cshuffleIDF16_DF16_DF16_ffNS_5TupleIJDF16_DF16_EEEDF16_NS_16tensor_operation12element_wise11PassThroughES6_NS5_14AddAddFastGeluELi1ELi256ELi256ELi128ELi32ELi8ELi8ELi16ELi16ELi8ELi4ENS_8SequenceIJLi4ELi64ELi1EEEENS8_IJLi1ELi0ELi2EEEESA_Li2ELi8ELi8ELb0ELi1ES9_SA_SA_Li2ELi8ELi8ELb0ELi1ELi1ELi1ENS8_IJLi1ELi32ELi1ELi8EEEELi4ELNS_13LoopSchedulerE0ELNS_15PipelineVersionE0EDF16_Lb0EEEDF16_DF16_NS2_IJPKDF16_SG_EEEDF16_S6_S6_S7_NS_16TensorDescriptorINS2_IJNS_5EmbedINS2_IJiiEEENS2_IJiNS_17integral_constantIiLi1EEEEEELb0EEENS_11PassThroughIiEESQ_NS_7UnMergeINS2_IJiNSL_IiLi8EEEEEELb0EEESQ_EEENS2_IJNS8_IJLi0EEEENS8_IJLi1EEEENS8_IJLi2EEEENS8_IJLi4EEEENS8_IJLi3EEEEEEENS2_IJNS8_IJLi1ELi2EEEES10_SZ_NS8_IJLi5ELi6EEEENS8_IJLi7EEEEEEENS8_IJLi5ELi7ELi6EEEElEES17_NS2_IJNSI_INS2_IJSO_SQ_SQ_NSR_INS2_IJiNSL_IiLi256EEEEEELb0EEENSR_INS2_IJiNSL_IiLi128EEEEEELb0EEEEEENS2_IJSW_SX_SY_S10_SZ_EEENS2_IJS12_S10_SZ_S13_NS8_IJLi7ELi8EEEEEEENS8_IJLi5ELi6ELi7ELi8EEEElEES1J_EEES1J_NS_31BlockToCTileMap_M00_N0_M01AdaptILi256ELi128ENSI_INS2_IJSO_SQ_SQ_EEENS2_IJSW_SX_SY_EEENS2_IJS12_S10_SZ_EEENS8_IJLi3ELi4EEEElEEiEELb1EEEvPKT0_PKT1_T2_PT3_T4_T5_T6_T7_T8_T9_T10_T11_.num_agpr, 0
	.set _ZN2ck35kernel_gemm_multiple_d_xdl_cshuffleINS_34GridwiseGemmMultipleD_xdl_cshuffleIDF16_DF16_DF16_ffNS_5TupleIJDF16_DF16_EEEDF16_NS_16tensor_operation12element_wise11PassThroughES6_NS5_14AddAddFastGeluELi1ELi256ELi256ELi128ELi32ELi8ELi8ELi16ELi16ELi8ELi4ENS_8SequenceIJLi4ELi64ELi1EEEENS8_IJLi1ELi0ELi2EEEESA_Li2ELi8ELi8ELb0ELi1ES9_SA_SA_Li2ELi8ELi8ELb0ELi1ELi1ELi1ENS8_IJLi1ELi32ELi1ELi8EEEELi4ELNS_13LoopSchedulerE0ELNS_15PipelineVersionE0EDF16_Lb0EEEDF16_DF16_NS2_IJPKDF16_SG_EEEDF16_S6_S6_S7_NS_16TensorDescriptorINS2_IJNS_5EmbedINS2_IJiiEEENS2_IJiNS_17integral_constantIiLi1EEEEEELb0EEENS_11PassThroughIiEESQ_NS_7UnMergeINS2_IJiNSL_IiLi8EEEEEELb0EEESQ_EEENS2_IJNS8_IJLi0EEEENS8_IJLi1EEEENS8_IJLi2EEEENS8_IJLi4EEEENS8_IJLi3EEEEEEENS2_IJNS8_IJLi1ELi2EEEES10_SZ_NS8_IJLi5ELi6EEEENS8_IJLi7EEEEEEENS8_IJLi5ELi7ELi6EEEElEES17_NS2_IJNSI_INS2_IJSO_SQ_SQ_NSR_INS2_IJiNSL_IiLi256EEEEEELb0EEENSR_INS2_IJiNSL_IiLi128EEEEEELb0EEEEEENS2_IJSW_SX_SY_S10_SZ_EEENS2_IJS12_S10_SZ_S13_NS8_IJLi7ELi8EEEEEEENS8_IJLi5ELi6ELi7ELi8EEEElEES1J_EEES1J_NS_31BlockToCTileMap_M00_N0_M01AdaptILi256ELi128ENSI_INS2_IJSO_SQ_SQ_EEENS2_IJSW_SX_SY_EEENS2_IJS12_S10_SZ_EEENS8_IJLi3ELi4EEEElEEiEELb1EEEvPKT0_PKT1_T2_PT3_T4_T5_T6_T7_T8_T9_T10_T11_.numbered_sgpr, 34
	.set _ZN2ck35kernel_gemm_multiple_d_xdl_cshuffleINS_34GridwiseGemmMultipleD_xdl_cshuffleIDF16_DF16_DF16_ffNS_5TupleIJDF16_DF16_EEEDF16_NS_16tensor_operation12element_wise11PassThroughES6_NS5_14AddAddFastGeluELi1ELi256ELi256ELi128ELi32ELi8ELi8ELi16ELi16ELi8ELi4ENS_8SequenceIJLi4ELi64ELi1EEEENS8_IJLi1ELi0ELi2EEEESA_Li2ELi8ELi8ELb0ELi1ES9_SA_SA_Li2ELi8ELi8ELb0ELi1ELi1ELi1ENS8_IJLi1ELi32ELi1ELi8EEEELi4ELNS_13LoopSchedulerE0ELNS_15PipelineVersionE0EDF16_Lb0EEEDF16_DF16_NS2_IJPKDF16_SG_EEEDF16_S6_S6_S7_NS_16TensorDescriptorINS2_IJNS_5EmbedINS2_IJiiEEENS2_IJiNS_17integral_constantIiLi1EEEEEELb0EEENS_11PassThroughIiEESQ_NS_7UnMergeINS2_IJiNSL_IiLi8EEEEEELb0EEESQ_EEENS2_IJNS8_IJLi0EEEENS8_IJLi1EEEENS8_IJLi2EEEENS8_IJLi4EEEENS8_IJLi3EEEEEEENS2_IJNS8_IJLi1ELi2EEEES10_SZ_NS8_IJLi5ELi6EEEENS8_IJLi7EEEEEEENS8_IJLi5ELi7ELi6EEEElEES17_NS2_IJNSI_INS2_IJSO_SQ_SQ_NSR_INS2_IJiNSL_IiLi256EEEEEELb0EEENSR_INS2_IJiNSL_IiLi128EEEEEELb0EEEEEENS2_IJSW_SX_SY_S10_SZ_EEENS2_IJS12_S10_SZ_S13_NS8_IJLi7ELi8EEEEEEENS8_IJLi5ELi6ELi7ELi8EEEElEES1J_EEES1J_NS_31BlockToCTileMap_M00_N0_M01AdaptILi256ELi128ENSI_INS2_IJSO_SQ_SQ_EEENS2_IJSW_SX_SY_EEENS2_IJS12_S10_SZ_EEENS8_IJLi3ELi4EEEElEEiEELb1EEEvPKT0_PKT1_T2_PT3_T4_T5_T6_T7_T8_T9_T10_T11_.num_named_barrier, 0
	.set _ZN2ck35kernel_gemm_multiple_d_xdl_cshuffleINS_34GridwiseGemmMultipleD_xdl_cshuffleIDF16_DF16_DF16_ffNS_5TupleIJDF16_DF16_EEEDF16_NS_16tensor_operation12element_wise11PassThroughES6_NS5_14AddAddFastGeluELi1ELi256ELi256ELi128ELi32ELi8ELi8ELi16ELi16ELi8ELi4ENS_8SequenceIJLi4ELi64ELi1EEEENS8_IJLi1ELi0ELi2EEEESA_Li2ELi8ELi8ELb0ELi1ES9_SA_SA_Li2ELi8ELi8ELb0ELi1ELi1ELi1ENS8_IJLi1ELi32ELi1ELi8EEEELi4ELNS_13LoopSchedulerE0ELNS_15PipelineVersionE0EDF16_Lb0EEEDF16_DF16_NS2_IJPKDF16_SG_EEEDF16_S6_S6_S7_NS_16TensorDescriptorINS2_IJNS_5EmbedINS2_IJiiEEENS2_IJiNS_17integral_constantIiLi1EEEEEELb0EEENS_11PassThroughIiEESQ_NS_7UnMergeINS2_IJiNSL_IiLi8EEEEEELb0EEESQ_EEENS2_IJNS8_IJLi0EEEENS8_IJLi1EEEENS8_IJLi2EEEENS8_IJLi4EEEENS8_IJLi3EEEEEEENS2_IJNS8_IJLi1ELi2EEEES10_SZ_NS8_IJLi5ELi6EEEENS8_IJLi7EEEEEEENS8_IJLi5ELi7ELi6EEEElEES17_NS2_IJNSI_INS2_IJSO_SQ_SQ_NSR_INS2_IJiNSL_IiLi256EEEEEELb0EEENSR_INS2_IJiNSL_IiLi128EEEEEELb0EEEEEENS2_IJSW_SX_SY_S10_SZ_EEENS2_IJS12_S10_SZ_S13_NS8_IJLi7ELi8EEEEEEENS8_IJLi5ELi6ELi7ELi8EEEElEES1J_EEES1J_NS_31BlockToCTileMap_M00_N0_M01AdaptILi256ELi128ENSI_INS2_IJSO_SQ_SQ_EEENS2_IJSW_SX_SY_EEENS2_IJS12_S10_SZ_EEENS8_IJLi3ELi4EEEElEEiEELb1EEEvPKT0_PKT1_T2_PT3_T4_T5_T6_T7_T8_T9_T10_T11_.private_seg_size, 0
	.set _ZN2ck35kernel_gemm_multiple_d_xdl_cshuffleINS_34GridwiseGemmMultipleD_xdl_cshuffleIDF16_DF16_DF16_ffNS_5TupleIJDF16_DF16_EEEDF16_NS_16tensor_operation12element_wise11PassThroughES6_NS5_14AddAddFastGeluELi1ELi256ELi256ELi128ELi32ELi8ELi8ELi16ELi16ELi8ELi4ENS_8SequenceIJLi4ELi64ELi1EEEENS8_IJLi1ELi0ELi2EEEESA_Li2ELi8ELi8ELb0ELi1ES9_SA_SA_Li2ELi8ELi8ELb0ELi1ELi1ELi1ENS8_IJLi1ELi32ELi1ELi8EEEELi4ELNS_13LoopSchedulerE0ELNS_15PipelineVersionE0EDF16_Lb0EEEDF16_DF16_NS2_IJPKDF16_SG_EEEDF16_S6_S6_S7_NS_16TensorDescriptorINS2_IJNS_5EmbedINS2_IJiiEEENS2_IJiNS_17integral_constantIiLi1EEEEEELb0EEENS_11PassThroughIiEESQ_NS_7UnMergeINS2_IJiNSL_IiLi8EEEEEELb0EEESQ_EEENS2_IJNS8_IJLi0EEEENS8_IJLi1EEEENS8_IJLi2EEEENS8_IJLi4EEEENS8_IJLi3EEEEEEENS2_IJNS8_IJLi1ELi2EEEES10_SZ_NS8_IJLi5ELi6EEEENS8_IJLi7EEEEEEENS8_IJLi5ELi7ELi6EEEElEES17_NS2_IJNSI_INS2_IJSO_SQ_SQ_NSR_INS2_IJiNSL_IiLi256EEEEEELb0EEENSR_INS2_IJiNSL_IiLi128EEEEEELb0EEEEEENS2_IJSW_SX_SY_S10_SZ_EEENS2_IJS12_S10_SZ_S13_NS8_IJLi7ELi8EEEEEEENS8_IJLi5ELi6ELi7ELi8EEEElEES1J_EEES1J_NS_31BlockToCTileMap_M00_N0_M01AdaptILi256ELi128ENSI_INS2_IJSO_SQ_SQ_EEENS2_IJSW_SX_SY_EEENS2_IJS12_S10_SZ_EEENS8_IJLi3ELi4EEEElEEiEELb1EEEvPKT0_PKT1_T2_PT3_T4_T5_T6_T7_T8_T9_T10_T11_.uses_vcc, 1
	.set _ZN2ck35kernel_gemm_multiple_d_xdl_cshuffleINS_34GridwiseGemmMultipleD_xdl_cshuffleIDF16_DF16_DF16_ffNS_5TupleIJDF16_DF16_EEEDF16_NS_16tensor_operation12element_wise11PassThroughES6_NS5_14AddAddFastGeluELi1ELi256ELi256ELi128ELi32ELi8ELi8ELi16ELi16ELi8ELi4ENS_8SequenceIJLi4ELi64ELi1EEEENS8_IJLi1ELi0ELi2EEEESA_Li2ELi8ELi8ELb0ELi1ES9_SA_SA_Li2ELi8ELi8ELb0ELi1ELi1ELi1ENS8_IJLi1ELi32ELi1ELi8EEEELi4ELNS_13LoopSchedulerE0ELNS_15PipelineVersionE0EDF16_Lb0EEEDF16_DF16_NS2_IJPKDF16_SG_EEEDF16_S6_S6_S7_NS_16TensorDescriptorINS2_IJNS_5EmbedINS2_IJiiEEENS2_IJiNS_17integral_constantIiLi1EEEEEELb0EEENS_11PassThroughIiEESQ_NS_7UnMergeINS2_IJiNSL_IiLi8EEEEEELb0EEESQ_EEENS2_IJNS8_IJLi0EEEENS8_IJLi1EEEENS8_IJLi2EEEENS8_IJLi4EEEENS8_IJLi3EEEEEEENS2_IJNS8_IJLi1ELi2EEEES10_SZ_NS8_IJLi5ELi6EEEENS8_IJLi7EEEEEEENS8_IJLi5ELi7ELi6EEEElEES17_NS2_IJNSI_INS2_IJSO_SQ_SQ_NSR_INS2_IJiNSL_IiLi256EEEEEELb0EEENSR_INS2_IJiNSL_IiLi128EEEEEELb0EEEEEENS2_IJSW_SX_SY_S10_SZ_EEENS2_IJS12_S10_SZ_S13_NS8_IJLi7ELi8EEEEEEENS8_IJLi5ELi6ELi7ELi8EEEElEES1J_EEES1J_NS_31BlockToCTileMap_M00_N0_M01AdaptILi256ELi128ENSI_INS2_IJSO_SQ_SQ_EEENS2_IJSW_SX_SY_EEENS2_IJS12_S10_SZ_EEENS8_IJLi3ELi4EEEElEEiEELb1EEEvPKT0_PKT1_T2_PT3_T4_T5_T6_T7_T8_T9_T10_T11_.uses_flat_scratch, 0
	.set _ZN2ck35kernel_gemm_multiple_d_xdl_cshuffleINS_34GridwiseGemmMultipleD_xdl_cshuffleIDF16_DF16_DF16_ffNS_5TupleIJDF16_DF16_EEEDF16_NS_16tensor_operation12element_wise11PassThroughES6_NS5_14AddAddFastGeluELi1ELi256ELi256ELi128ELi32ELi8ELi8ELi16ELi16ELi8ELi4ENS_8SequenceIJLi4ELi64ELi1EEEENS8_IJLi1ELi0ELi2EEEESA_Li2ELi8ELi8ELb0ELi1ES9_SA_SA_Li2ELi8ELi8ELb0ELi1ELi1ELi1ENS8_IJLi1ELi32ELi1ELi8EEEELi4ELNS_13LoopSchedulerE0ELNS_15PipelineVersionE0EDF16_Lb0EEEDF16_DF16_NS2_IJPKDF16_SG_EEEDF16_S6_S6_S7_NS_16TensorDescriptorINS2_IJNS_5EmbedINS2_IJiiEEENS2_IJiNS_17integral_constantIiLi1EEEEEELb0EEENS_11PassThroughIiEESQ_NS_7UnMergeINS2_IJiNSL_IiLi8EEEEEELb0EEESQ_EEENS2_IJNS8_IJLi0EEEENS8_IJLi1EEEENS8_IJLi2EEEENS8_IJLi4EEEENS8_IJLi3EEEEEEENS2_IJNS8_IJLi1ELi2EEEES10_SZ_NS8_IJLi5ELi6EEEENS8_IJLi7EEEEEEENS8_IJLi5ELi7ELi6EEEElEES17_NS2_IJNSI_INS2_IJSO_SQ_SQ_NSR_INS2_IJiNSL_IiLi256EEEEEELb0EEENSR_INS2_IJiNSL_IiLi128EEEEEELb0EEEEEENS2_IJSW_SX_SY_S10_SZ_EEENS2_IJS12_S10_SZ_S13_NS8_IJLi7ELi8EEEEEEENS8_IJLi5ELi6ELi7ELi8EEEElEES1J_EEES1J_NS_31BlockToCTileMap_M00_N0_M01AdaptILi256ELi128ENSI_INS2_IJSO_SQ_SQ_EEENS2_IJSW_SX_SY_EEENS2_IJS12_S10_SZ_EEENS8_IJLi3ELi4EEEElEEiEELb1EEEvPKT0_PKT1_T2_PT3_T4_T5_T6_T7_T8_T9_T10_T11_.has_dyn_sized_stack, 0
	.set _ZN2ck35kernel_gemm_multiple_d_xdl_cshuffleINS_34GridwiseGemmMultipleD_xdl_cshuffleIDF16_DF16_DF16_ffNS_5TupleIJDF16_DF16_EEEDF16_NS_16tensor_operation12element_wise11PassThroughES6_NS5_14AddAddFastGeluELi1ELi256ELi256ELi128ELi32ELi8ELi8ELi16ELi16ELi8ELi4ENS_8SequenceIJLi4ELi64ELi1EEEENS8_IJLi1ELi0ELi2EEEESA_Li2ELi8ELi8ELb0ELi1ES9_SA_SA_Li2ELi8ELi8ELb0ELi1ELi1ELi1ENS8_IJLi1ELi32ELi1ELi8EEEELi4ELNS_13LoopSchedulerE0ELNS_15PipelineVersionE0EDF16_Lb0EEEDF16_DF16_NS2_IJPKDF16_SG_EEEDF16_S6_S6_S7_NS_16TensorDescriptorINS2_IJNS_5EmbedINS2_IJiiEEENS2_IJiNS_17integral_constantIiLi1EEEEEELb0EEENS_11PassThroughIiEESQ_NS_7UnMergeINS2_IJiNSL_IiLi8EEEEEELb0EEESQ_EEENS2_IJNS8_IJLi0EEEENS8_IJLi1EEEENS8_IJLi2EEEENS8_IJLi4EEEENS8_IJLi3EEEEEEENS2_IJNS8_IJLi1ELi2EEEES10_SZ_NS8_IJLi5ELi6EEEENS8_IJLi7EEEEEEENS8_IJLi5ELi7ELi6EEEElEES17_NS2_IJNSI_INS2_IJSO_SQ_SQ_NSR_INS2_IJiNSL_IiLi256EEEEEELb0EEENSR_INS2_IJiNSL_IiLi128EEEEEELb0EEEEEENS2_IJSW_SX_SY_S10_SZ_EEENS2_IJS12_S10_SZ_S13_NS8_IJLi7ELi8EEEEEEENS8_IJLi5ELi6ELi7ELi8EEEElEES1J_EEES1J_NS_31BlockToCTileMap_M00_N0_M01AdaptILi256ELi128ENSI_INS2_IJSO_SQ_SQ_EEENS2_IJSW_SX_SY_EEENS2_IJS12_S10_SZ_EEENS8_IJLi3ELi4EEEElEEiEELb1EEEvPKT0_PKT1_T2_PT3_T4_T5_T6_T7_T8_T9_T10_T11_.has_recursion, 0
	.set _ZN2ck35kernel_gemm_multiple_d_xdl_cshuffleINS_34GridwiseGemmMultipleD_xdl_cshuffleIDF16_DF16_DF16_ffNS_5TupleIJDF16_DF16_EEEDF16_NS_16tensor_operation12element_wise11PassThroughES6_NS5_14AddAddFastGeluELi1ELi256ELi256ELi128ELi32ELi8ELi8ELi16ELi16ELi8ELi4ENS_8SequenceIJLi4ELi64ELi1EEEENS8_IJLi1ELi0ELi2EEEESA_Li2ELi8ELi8ELb0ELi1ES9_SA_SA_Li2ELi8ELi8ELb0ELi1ELi1ELi1ENS8_IJLi1ELi32ELi1ELi8EEEELi4ELNS_13LoopSchedulerE0ELNS_15PipelineVersionE0EDF16_Lb0EEEDF16_DF16_NS2_IJPKDF16_SG_EEEDF16_S6_S6_S7_NS_16TensorDescriptorINS2_IJNS_5EmbedINS2_IJiiEEENS2_IJiNS_17integral_constantIiLi1EEEEEELb0EEENS_11PassThroughIiEESQ_NS_7UnMergeINS2_IJiNSL_IiLi8EEEEEELb0EEESQ_EEENS2_IJNS8_IJLi0EEEENS8_IJLi1EEEENS8_IJLi2EEEENS8_IJLi4EEEENS8_IJLi3EEEEEEENS2_IJNS8_IJLi1ELi2EEEES10_SZ_NS8_IJLi5ELi6EEEENS8_IJLi7EEEEEEENS8_IJLi5ELi7ELi6EEEElEES17_NS2_IJNSI_INS2_IJSO_SQ_SQ_NSR_INS2_IJiNSL_IiLi256EEEEEELb0EEENSR_INS2_IJiNSL_IiLi128EEEEEELb0EEEEEENS2_IJSW_SX_SY_S10_SZ_EEENS2_IJS12_S10_SZ_S13_NS8_IJLi7ELi8EEEEEEENS8_IJLi5ELi6ELi7ELi8EEEElEES1J_EEES1J_NS_31BlockToCTileMap_M00_N0_M01AdaptILi256ELi128ENSI_INS2_IJSO_SQ_SQ_EEENS2_IJSW_SX_SY_EEENS2_IJS12_S10_SZ_EEENS8_IJLi3ELi4EEEElEEiEELb1EEEvPKT0_PKT1_T2_PT3_T4_T5_T6_T7_T8_T9_T10_T11_.has_indirect_call, 0
	.section	.AMDGPU.csdata,"",@progbits
; Kernel info:
; codeLenInByte = 25712
; TotalNumSgprs: 40
; NumVgprs: 195
; NumAgprs: 0
; TotalNumVgprs: 195
; ScratchSize: 0
; MemoryBound: 0
; FloatMode: 240
; IeeeMode: 1
; LDSByteSize: 24672 bytes/workgroup (compile time only)
; SGPRBlocks: 12
; VGPRBlocks: 24
; NumSGPRsForWavesPerEU: 97
; NumVGPRsForWavesPerEU: 195
; AccumOffset: 196
; Occupancy: 2
; WaveLimiterHint : 0
; COMPUTE_PGM_RSRC2:SCRATCH_EN: 0
; COMPUTE_PGM_RSRC2:USER_SGPR: 2
; COMPUTE_PGM_RSRC2:TRAP_HANDLER: 0
; COMPUTE_PGM_RSRC2:TGID_X_EN: 1
; COMPUTE_PGM_RSRC2:TGID_Y_EN: 0
; COMPUTE_PGM_RSRC2:TGID_Z_EN: 0
; COMPUTE_PGM_RSRC2:TIDIG_COMP_CNT: 0
; COMPUTE_PGM_RSRC3_GFX90A:ACCUM_OFFSET: 48
; COMPUTE_PGM_RSRC3_GFX90A:TG_SPLIT: 0
	.section	.text._ZN2ck35kernel_gemm_multiple_d_xdl_cshuffleINS_34GridwiseGemmMultipleD_xdl_cshuffleIDF16_DF16_DF16_ffNS_5TupleIJDF16_DF16_EEEDF16_NS_16tensor_operation12element_wise11PassThroughES6_NS5_14AddAddFastGeluELi1ELi256ELi256ELi128ELi32ELi8ELi8ELi16ELi16ELi8ELi4ENS_8SequenceIJLi4ELi64ELi1EEEENS8_IJLi1ELi0ELi2EEEESA_Li2ELi8ELi8ELb0ELi1ES9_SA_SA_Li2ELi8ELi8ELb0ELi1ELi1ELi1ENS8_IJLi1ELi32ELi1ELi8EEEELi4ELNS_13LoopSchedulerE0ELNS_15PipelineVersionE0EDF16_Lb0EEEDF16_DF16_NS2_IJPKDF16_SG_EEEDF16_S6_S6_S7_NS_16TensorDescriptorINS2_IJNS_5EmbedINS2_IJiiEEENS2_IJiNS_17integral_constantIiLi1EEEEEELb0EEENS_11PassThroughIiEESQ_NS_7UnMergeINS2_IJiNSL_IiLi8EEEEEELb0EEESQ_EEENS2_IJNS8_IJLi0EEEENS8_IJLi1EEEENS8_IJLi2EEEENS8_IJLi4EEEENS8_IJLi3EEEEEEENS2_IJNS8_IJLi1ELi2EEEES10_SZ_NS8_IJLi5ELi6EEEENS8_IJLi7EEEEEEENS8_IJLi5ELi7ELi6EEEElEES17_NS2_IJNSI_INS2_IJSO_SQ_SQ_NSR_INS2_IJiNSL_IiLi256EEEEEELb0EEENSR_INS2_IJiNSL_IiLi128EEEEEELb0EEEEEENS2_IJSW_SX_SY_S10_SZ_EEENS2_IJS12_S10_SZ_S13_NS8_IJLi7ELi8EEEEEEENS8_IJLi5ELi6ELi7ELi8EEEElEES1J_EEES1J_NS_31BlockToCTileMap_M00_N0_M01AdaptILi256ELi128ENSI_INS2_IJSO_SQ_SQ_EEENS2_IJSW_SX_SY_EEENS2_IJS12_S10_SZ_EEENS8_IJLi3ELi4EEEElEEiEELb0EEEvPKT0_PKT1_T2_PT3_T4_T5_T6_T7_T8_T9_T10_T11_,"axG",@progbits,_ZN2ck35kernel_gemm_multiple_d_xdl_cshuffleINS_34GridwiseGemmMultipleD_xdl_cshuffleIDF16_DF16_DF16_ffNS_5TupleIJDF16_DF16_EEEDF16_NS_16tensor_operation12element_wise11PassThroughES6_NS5_14AddAddFastGeluELi1ELi256ELi256ELi128ELi32ELi8ELi8ELi16ELi16ELi8ELi4ENS_8SequenceIJLi4ELi64ELi1EEEENS8_IJLi1ELi0ELi2EEEESA_Li2ELi8ELi8ELb0ELi1ES9_SA_SA_Li2ELi8ELi8ELb0ELi1ELi1ELi1ENS8_IJLi1ELi32ELi1ELi8EEEELi4ELNS_13LoopSchedulerE0ELNS_15PipelineVersionE0EDF16_Lb0EEEDF16_DF16_NS2_IJPKDF16_SG_EEEDF16_S6_S6_S7_NS_16TensorDescriptorINS2_IJNS_5EmbedINS2_IJiiEEENS2_IJiNS_17integral_constantIiLi1EEEEEELb0EEENS_11PassThroughIiEESQ_NS_7UnMergeINS2_IJiNSL_IiLi8EEEEEELb0EEESQ_EEENS2_IJNS8_IJLi0EEEENS8_IJLi1EEEENS8_IJLi2EEEENS8_IJLi4EEEENS8_IJLi3EEEEEEENS2_IJNS8_IJLi1ELi2EEEES10_SZ_NS8_IJLi5ELi6EEEENS8_IJLi7EEEEEEENS8_IJLi5ELi7ELi6EEEElEES17_NS2_IJNSI_INS2_IJSO_SQ_SQ_NSR_INS2_IJiNSL_IiLi256EEEEEELb0EEENSR_INS2_IJiNSL_IiLi128EEEEEELb0EEEEEENS2_IJSW_SX_SY_S10_SZ_EEENS2_IJS12_S10_SZ_S13_NS8_IJLi7ELi8EEEEEEENS8_IJLi5ELi6ELi7ELi8EEEElEES1J_EEES1J_NS_31BlockToCTileMap_M00_N0_M01AdaptILi256ELi128ENSI_INS2_IJSO_SQ_SQ_EEENS2_IJSW_SX_SY_EEENS2_IJS12_S10_SZ_EEENS8_IJLi3ELi4EEEElEEiEELb0EEEvPKT0_PKT1_T2_PT3_T4_T5_T6_T7_T8_T9_T10_T11_,comdat
	.protected	_ZN2ck35kernel_gemm_multiple_d_xdl_cshuffleINS_34GridwiseGemmMultipleD_xdl_cshuffleIDF16_DF16_DF16_ffNS_5TupleIJDF16_DF16_EEEDF16_NS_16tensor_operation12element_wise11PassThroughES6_NS5_14AddAddFastGeluELi1ELi256ELi256ELi128ELi32ELi8ELi8ELi16ELi16ELi8ELi4ENS_8SequenceIJLi4ELi64ELi1EEEENS8_IJLi1ELi0ELi2EEEESA_Li2ELi8ELi8ELb0ELi1ES9_SA_SA_Li2ELi8ELi8ELb0ELi1ELi1ELi1ENS8_IJLi1ELi32ELi1ELi8EEEELi4ELNS_13LoopSchedulerE0ELNS_15PipelineVersionE0EDF16_Lb0EEEDF16_DF16_NS2_IJPKDF16_SG_EEEDF16_S6_S6_S7_NS_16TensorDescriptorINS2_IJNS_5EmbedINS2_IJiiEEENS2_IJiNS_17integral_constantIiLi1EEEEEELb0EEENS_11PassThroughIiEESQ_NS_7UnMergeINS2_IJiNSL_IiLi8EEEEEELb0EEESQ_EEENS2_IJNS8_IJLi0EEEENS8_IJLi1EEEENS8_IJLi2EEEENS8_IJLi4EEEENS8_IJLi3EEEEEEENS2_IJNS8_IJLi1ELi2EEEES10_SZ_NS8_IJLi5ELi6EEEENS8_IJLi7EEEEEEENS8_IJLi5ELi7ELi6EEEElEES17_NS2_IJNSI_INS2_IJSO_SQ_SQ_NSR_INS2_IJiNSL_IiLi256EEEEEELb0EEENSR_INS2_IJiNSL_IiLi128EEEEEELb0EEEEEENS2_IJSW_SX_SY_S10_SZ_EEENS2_IJS12_S10_SZ_S13_NS8_IJLi7ELi8EEEEEEENS8_IJLi5ELi6ELi7ELi8EEEElEES1J_EEES1J_NS_31BlockToCTileMap_M00_N0_M01AdaptILi256ELi128ENSI_INS2_IJSO_SQ_SQ_EEENS2_IJSW_SX_SY_EEENS2_IJS12_S10_SZ_EEENS8_IJLi3ELi4EEEElEEiEELb0EEEvPKT0_PKT1_T2_PT3_T4_T5_T6_T7_T8_T9_T10_T11_ ; -- Begin function _ZN2ck35kernel_gemm_multiple_d_xdl_cshuffleINS_34GridwiseGemmMultipleD_xdl_cshuffleIDF16_DF16_DF16_ffNS_5TupleIJDF16_DF16_EEEDF16_NS_16tensor_operation12element_wise11PassThroughES6_NS5_14AddAddFastGeluELi1ELi256ELi256ELi128ELi32ELi8ELi8ELi16ELi16ELi8ELi4ENS_8SequenceIJLi4ELi64ELi1EEEENS8_IJLi1ELi0ELi2EEEESA_Li2ELi8ELi8ELb0ELi1ES9_SA_SA_Li2ELi8ELi8ELb0ELi1ELi1ELi1ENS8_IJLi1ELi32ELi1ELi8EEEELi4ELNS_13LoopSchedulerE0ELNS_15PipelineVersionE0EDF16_Lb0EEEDF16_DF16_NS2_IJPKDF16_SG_EEEDF16_S6_S6_S7_NS_16TensorDescriptorINS2_IJNS_5EmbedINS2_IJiiEEENS2_IJiNS_17integral_constantIiLi1EEEEEELb0EEENS_11PassThroughIiEESQ_NS_7UnMergeINS2_IJiNSL_IiLi8EEEEEELb0EEESQ_EEENS2_IJNS8_IJLi0EEEENS8_IJLi1EEEENS8_IJLi2EEEENS8_IJLi4EEEENS8_IJLi3EEEEEEENS2_IJNS8_IJLi1ELi2EEEES10_SZ_NS8_IJLi5ELi6EEEENS8_IJLi7EEEEEEENS8_IJLi5ELi7ELi6EEEElEES17_NS2_IJNSI_INS2_IJSO_SQ_SQ_NSR_INS2_IJiNSL_IiLi256EEEEEELb0EEENSR_INS2_IJiNSL_IiLi128EEEEEELb0EEEEEENS2_IJSW_SX_SY_S10_SZ_EEENS2_IJS12_S10_SZ_S13_NS8_IJLi7ELi8EEEEEEENS8_IJLi5ELi6ELi7ELi8EEEElEES1J_EEES1J_NS_31BlockToCTileMap_M00_N0_M01AdaptILi256ELi128ENSI_INS2_IJSO_SQ_SQ_EEENS2_IJSW_SX_SY_EEENS2_IJS12_S10_SZ_EEENS8_IJLi3ELi4EEEElEEiEELb0EEEvPKT0_PKT1_T2_PT3_T4_T5_T6_T7_T8_T9_T10_T11_
	.globl	_ZN2ck35kernel_gemm_multiple_d_xdl_cshuffleINS_34GridwiseGemmMultipleD_xdl_cshuffleIDF16_DF16_DF16_ffNS_5TupleIJDF16_DF16_EEEDF16_NS_16tensor_operation12element_wise11PassThroughES6_NS5_14AddAddFastGeluELi1ELi256ELi256ELi128ELi32ELi8ELi8ELi16ELi16ELi8ELi4ENS_8SequenceIJLi4ELi64ELi1EEEENS8_IJLi1ELi0ELi2EEEESA_Li2ELi8ELi8ELb0ELi1ES9_SA_SA_Li2ELi8ELi8ELb0ELi1ELi1ELi1ENS8_IJLi1ELi32ELi1ELi8EEEELi4ELNS_13LoopSchedulerE0ELNS_15PipelineVersionE0EDF16_Lb0EEEDF16_DF16_NS2_IJPKDF16_SG_EEEDF16_S6_S6_S7_NS_16TensorDescriptorINS2_IJNS_5EmbedINS2_IJiiEEENS2_IJiNS_17integral_constantIiLi1EEEEEELb0EEENS_11PassThroughIiEESQ_NS_7UnMergeINS2_IJiNSL_IiLi8EEEEEELb0EEESQ_EEENS2_IJNS8_IJLi0EEEENS8_IJLi1EEEENS8_IJLi2EEEENS8_IJLi4EEEENS8_IJLi3EEEEEEENS2_IJNS8_IJLi1ELi2EEEES10_SZ_NS8_IJLi5ELi6EEEENS8_IJLi7EEEEEEENS8_IJLi5ELi7ELi6EEEElEES17_NS2_IJNSI_INS2_IJSO_SQ_SQ_NSR_INS2_IJiNSL_IiLi256EEEEEELb0EEENSR_INS2_IJiNSL_IiLi128EEEEEELb0EEEEEENS2_IJSW_SX_SY_S10_SZ_EEENS2_IJS12_S10_SZ_S13_NS8_IJLi7ELi8EEEEEEENS8_IJLi5ELi6ELi7ELi8EEEElEES1J_EEES1J_NS_31BlockToCTileMap_M00_N0_M01AdaptILi256ELi128ENSI_INS2_IJSO_SQ_SQ_EEENS2_IJSW_SX_SY_EEENS2_IJS12_S10_SZ_EEENS8_IJLi3ELi4EEEElEEiEELb0EEEvPKT0_PKT1_T2_PT3_T4_T5_T6_T7_T8_T9_T10_T11_
	.p2align	8
	.type	_ZN2ck35kernel_gemm_multiple_d_xdl_cshuffleINS_34GridwiseGemmMultipleD_xdl_cshuffleIDF16_DF16_DF16_ffNS_5TupleIJDF16_DF16_EEEDF16_NS_16tensor_operation12element_wise11PassThroughES6_NS5_14AddAddFastGeluELi1ELi256ELi256ELi128ELi32ELi8ELi8ELi16ELi16ELi8ELi4ENS_8SequenceIJLi4ELi64ELi1EEEENS8_IJLi1ELi0ELi2EEEESA_Li2ELi8ELi8ELb0ELi1ES9_SA_SA_Li2ELi8ELi8ELb0ELi1ELi1ELi1ENS8_IJLi1ELi32ELi1ELi8EEEELi4ELNS_13LoopSchedulerE0ELNS_15PipelineVersionE0EDF16_Lb0EEEDF16_DF16_NS2_IJPKDF16_SG_EEEDF16_S6_S6_S7_NS_16TensorDescriptorINS2_IJNS_5EmbedINS2_IJiiEEENS2_IJiNS_17integral_constantIiLi1EEEEEELb0EEENS_11PassThroughIiEESQ_NS_7UnMergeINS2_IJiNSL_IiLi8EEEEEELb0EEESQ_EEENS2_IJNS8_IJLi0EEEENS8_IJLi1EEEENS8_IJLi2EEEENS8_IJLi4EEEENS8_IJLi3EEEEEEENS2_IJNS8_IJLi1ELi2EEEES10_SZ_NS8_IJLi5ELi6EEEENS8_IJLi7EEEEEEENS8_IJLi5ELi7ELi6EEEElEES17_NS2_IJNSI_INS2_IJSO_SQ_SQ_NSR_INS2_IJiNSL_IiLi256EEEEEELb0EEENSR_INS2_IJiNSL_IiLi128EEEEEELb0EEEEEENS2_IJSW_SX_SY_S10_SZ_EEENS2_IJS12_S10_SZ_S13_NS8_IJLi7ELi8EEEEEEENS8_IJLi5ELi6ELi7ELi8EEEElEES1J_EEES1J_NS_31BlockToCTileMap_M00_N0_M01AdaptILi256ELi128ENSI_INS2_IJSO_SQ_SQ_EEENS2_IJSW_SX_SY_EEENS2_IJS12_S10_SZ_EEENS8_IJLi3ELi4EEEElEEiEELb0EEEvPKT0_PKT1_T2_PT3_T4_T5_T6_T7_T8_T9_T10_T11_,@function
_ZN2ck35kernel_gemm_multiple_d_xdl_cshuffleINS_34GridwiseGemmMultipleD_xdl_cshuffleIDF16_DF16_DF16_ffNS_5TupleIJDF16_DF16_EEEDF16_NS_16tensor_operation12element_wise11PassThroughES6_NS5_14AddAddFastGeluELi1ELi256ELi256ELi128ELi32ELi8ELi8ELi16ELi16ELi8ELi4ENS_8SequenceIJLi4ELi64ELi1EEEENS8_IJLi1ELi0ELi2EEEESA_Li2ELi8ELi8ELb0ELi1ES9_SA_SA_Li2ELi8ELi8ELb0ELi1ELi1ELi1ENS8_IJLi1ELi32ELi1ELi8EEEELi4ELNS_13LoopSchedulerE0ELNS_15PipelineVersionE0EDF16_Lb0EEEDF16_DF16_NS2_IJPKDF16_SG_EEEDF16_S6_S6_S7_NS_16TensorDescriptorINS2_IJNS_5EmbedINS2_IJiiEEENS2_IJiNS_17integral_constantIiLi1EEEEEELb0EEENS_11PassThroughIiEESQ_NS_7UnMergeINS2_IJiNSL_IiLi8EEEEEELb0EEESQ_EEENS2_IJNS8_IJLi0EEEENS8_IJLi1EEEENS8_IJLi2EEEENS8_IJLi4EEEENS8_IJLi3EEEEEEENS2_IJNS8_IJLi1ELi2EEEES10_SZ_NS8_IJLi5ELi6EEEENS8_IJLi7EEEEEEENS8_IJLi5ELi7ELi6EEEElEES17_NS2_IJNSI_INS2_IJSO_SQ_SQ_NSR_INS2_IJiNSL_IiLi256EEEEEELb0EEENSR_INS2_IJiNSL_IiLi128EEEEEELb0EEEEEENS2_IJSW_SX_SY_S10_SZ_EEENS2_IJS12_S10_SZ_S13_NS8_IJLi7ELi8EEEEEEENS8_IJLi5ELi6ELi7ELi8EEEElEES1J_EEES1J_NS_31BlockToCTileMap_M00_N0_M01AdaptILi256ELi128ENSI_INS2_IJSO_SQ_SQ_EEENS2_IJSW_SX_SY_EEENS2_IJS12_S10_SZ_EEENS8_IJLi3ELi4EEEElEEiEELb0EEEvPKT0_PKT1_T2_PT3_T4_T5_T6_T7_T8_T9_T10_T11_: ; @_ZN2ck35kernel_gemm_multiple_d_xdl_cshuffleINS_34GridwiseGemmMultipleD_xdl_cshuffleIDF16_DF16_DF16_ffNS_5TupleIJDF16_DF16_EEEDF16_NS_16tensor_operation12element_wise11PassThroughES6_NS5_14AddAddFastGeluELi1ELi256ELi256ELi128ELi32ELi8ELi8ELi16ELi16ELi8ELi4ENS_8SequenceIJLi4ELi64ELi1EEEENS8_IJLi1ELi0ELi2EEEESA_Li2ELi8ELi8ELb0ELi1ES9_SA_SA_Li2ELi8ELi8ELb0ELi1ELi1ELi1ENS8_IJLi1ELi32ELi1ELi8EEEELi4ELNS_13LoopSchedulerE0ELNS_15PipelineVersionE0EDF16_Lb0EEEDF16_DF16_NS2_IJPKDF16_SG_EEEDF16_S6_S6_S7_NS_16TensorDescriptorINS2_IJNS_5EmbedINS2_IJiiEEENS2_IJiNS_17integral_constantIiLi1EEEEEELb0EEENS_11PassThroughIiEESQ_NS_7UnMergeINS2_IJiNSL_IiLi8EEEEEELb0EEESQ_EEENS2_IJNS8_IJLi0EEEENS8_IJLi1EEEENS8_IJLi2EEEENS8_IJLi4EEEENS8_IJLi3EEEEEEENS2_IJNS8_IJLi1ELi2EEEES10_SZ_NS8_IJLi5ELi6EEEENS8_IJLi7EEEEEEENS8_IJLi5ELi7ELi6EEEElEES17_NS2_IJNSI_INS2_IJSO_SQ_SQ_NSR_INS2_IJiNSL_IiLi256EEEEEELb0EEENSR_INS2_IJiNSL_IiLi128EEEEEELb0EEEEEENS2_IJSW_SX_SY_S10_SZ_EEENS2_IJS12_S10_SZ_S13_NS8_IJLi7ELi8EEEEEEENS8_IJLi5ELi6ELi7ELi8EEEElEES1J_EEES1J_NS_31BlockToCTileMap_M00_N0_M01AdaptILi256ELi128ENSI_INS2_IJSO_SQ_SQ_EEENS2_IJSW_SX_SY_EEENS2_IJS12_S10_SZ_EEENS8_IJLi3ELi4EEEElEEiEELb0EEEvPKT0_PKT1_T2_PT3_T4_T5_T6_T7_T8_T9_T10_T11_
; %bb.0:
	s_load_dwordx2 s[4:5], s[0:1], 0x160
	s_load_dword s15, s[0:1], 0x168
	v_and_b32_e32 v26, 3, v0
	v_lshlrev_b32_e32 v2, 3, v26
	v_and_b32_e32 v54, 15, v0
	s_waitcnt lgkmcnt(0)
	s_addk_i32 s4, 0xff
	s_add_i32 s3, s5, 0x7f
	s_ashr_i32 s5, s4, 31
	s_ashr_i32 s6, s3, 31
	s_lshr_b32 s5, s5, 24
	s_add_i32 s12, s4, s5
	s_lshr_b32 s4, s6, 25
	s_add_i32 s3, s3, s4
	s_ashr_i32 s13, s12, 8
	s_ashr_i32 s14, s3, 7
	s_mul_i32 s3, s14, s13
	s_abs_i32 s3, s3
	v_cvt_f32_u32_e32 v1, s3
	s_sub_i32 s5, 0, s3
	s_ashr_i32 s4, s2, 31
	s_abs_i32 s2, s2
	v_rcp_iflag_f32_e32 v1, v1
	v_lshlrev_b32_e32 v30, 2, v0
	v_mul_u32_u24_e32 v32, 0x810, v26
	v_lshlrev_b32_e32 v33, 4, v54
	v_mul_f32_e32 v1, 0x4f7ffffe, v1
	v_cvt_u32_f32_e32 v1, v1
	v_lshrrev_b32_e32 v31, 2, v0
	v_lshrrev_b32_e32 v59, 3, v0
	v_and_b32_e32 v64, 28, v30
	v_readfirstlane_b32 s6, v1
	s_mul_i32 s5, s5, s6
	s_mul_hi_u32 s5, s6, s5
	s_add_i32 s6, s6, s5
	s_mul_hi_u32 s5, s2, s6
	s_mul_i32 s5, s5, s3
	s_sub_i32 s2, s2, s5
	s_sub_i32 s5, s2, s3
	s_cmp_ge_u32 s2, s3
	s_cselect_b32 s2, s5, s2
	s_sub_i32 s5, s2, s3
	s_cmp_ge_u32 s2, s3
	s_cselect_b32 s2, s5, s2
	s_abs_i32 s3, s14
	v_cvt_f32_u32_e32 v1, s3
	s_xor_b32 s2, s2, s4
	s_sub_i32 s2, s2, s4
	s_xor_b32 s4, s2, s14
	v_rcp_iflag_f32_e32 v1, v1
	s_sub_i32 s5, 0, s3
	s_ashr_i32 s16, s4, 31
	s_abs_i32 s6, s2
	v_mul_f32_e32 v1, 0x4f7ffffe, v1
	v_cvt_u32_f32_e32 v1, v1
	v_and_b32_e32 v31, 12, v31
	v_and_or_b32 v55, v59, 16, v31
	v_readfirstlane_b32 s4, v1
	s_mul_i32 s5, s5, s4
	s_mul_hi_u32 s5, s4, s5
	s_add_i32 s4, s4, s5
	s_mul_hi_u32 s4, s6, s4
	s_mul_i32 s5, s4, s3
	s_sub_i32 s5, s6, s5
	s_add_i32 s7, s4, 1
	s_sub_i32 s6, s5, s3
	s_cmp_ge_u32 s5, s3
	s_cselect_b32 s4, s7, s4
	s_cselect_b32 s5, s6, s5
	s_add_i32 s6, s4, 1
	s_cmp_ge_u32 s5, s3
	s_cselect_b32 s3, s6, s4
	s_abs_i32 s17, s15
	v_cvt_f32_u32_e32 v1, s17
	s_xor_b32 s3, s3, s16
	s_sub_i32 s19, 0, s17
	s_sub_i32 s20, s3, s16
	v_rcp_iflag_f32_e32 v1, v1
	s_abs_i32 s18, s13
	s_ashr_i32 s12, s12, 31
	s_mul_i32 s3, s20, s14
	v_mul_f32_e32 v1, 0x4f7ffffe, v1
	v_cvt_u32_f32_e32 v1, v1
	s_load_dwordx8 s[4:11], s[0:1], 0x0
	v_readfirstlane_b32 s16, v1
	s_mul_i32 s19, s19, s16
	s_mul_hi_u32 s19, s16, s19
	s_add_i32 s16, s16, s19
	s_mul_hi_u32 s19, s18, s16
	s_mul_i32 s19, s19, s17
	s_sub_i32 s18, s18, s19
	s_sub_i32 s19, s18, s17
	s_cmp_ge_u32 s18, s17
	s_cselect_b32 s18, s19, s18
	s_sub_i32 s19, s18, s17
	s_cmp_ge_u32 s18, s17
	s_cselect_b32 s18, s19, s18
	s_xor_b32 s18, s18, s12
	s_sub_i32 s12, s18, s12
	s_sub_i32 s13, s13, s12
	s_cmp_lt_i32 s20, s13
	s_cselect_b32 s12, s15, s12
	s_sub_i32 s2, s2, s3
	s_abs_i32 s3, s20
	s_mul_hi_u32 s15, s3, s16
	s_mul_i32 s15, s15, s17
	s_sub_i32 s3, s3, s15
	s_ashr_i32 s13, s20, 31
	s_sub_i32 s15, s3, s17
	s_cmp_ge_u32 s3, s17
	s_cselect_b32 s3, s15, s3
	s_sub_i32 s15, s3, s17
	s_cmp_ge_u32 s3, s17
	s_cselect_b32 s15, s15, s3
	s_abs_i32 s18, s12
	v_cvt_f32_u32_e32 v1, s18
	s_xor_b32 s15, s15, s13
	s_sub_i32 s13, s15, s13
	s_sub_i32 s24, 0, s18
	v_rcp_iflag_f32_e32 v1, v1
	s_mul_i32 s14, s13, s14
	s_add_i32 s14, s14, s2
	s_abs_i32 s15, s14
	v_mul_f32_e32 v1, 0x4f7ffffe, v1
	v_cvt_u32_f32_e32 v1, v1
	s_xor_b32 s2, s14, s12
	s_ashr_i32 s2, s2, 31
	s_load_dword s19, s[0:1], 0x38
	s_load_dword s21, s[0:1], 0x60
	;; [unrolled: 1-line block ×7, first 2 shown]
	v_readfirstlane_b32 s25, v1
	s_mul_i32 s24, s24, s25
	s_mul_hi_u32 s24, s25, s24
	s_add_i32 s25, s25, s24
	s_mul_hi_u32 s24, s15, s25
	s_mul_i32 s25, s24, s18
	s_sub_i32 s15, s15, s25
	s_add_i32 s25, s24, 1
	s_sub_i32 s26, s15, s18
	s_cmp_ge_u32 s15, s18
	s_cselect_b32 s24, s25, s24
	s_cselect_b32 s15, s26, s15
	s_add_i32 s25, s24, 1
	s_cmp_ge_u32 s15, s18
	s_cselect_b32 s15, s25, s24
	s_xor_b32 s15, s15, s2
	s_sub_i32 s18, s15, s2
	s_mul_i32 s2, s18, s12
	s_sub_i32 s2, s14, s2
	s_sub_i32 s12, s20, s13
	s_add_i32 s20, s12, s2
	v_and_b32_e32 v1, 0xfc, v0
	v_lshl_or_b32 v3, s20, 8, v1
	s_waitcnt lgkmcnt(0)
	v_mad_u64_u32 v[4:5], s[12:13], v3, s19, v[2:3]
	v_lshrrev_b32_e32 v3, 1, v0
	v_and_b32_e32 v27, 0x7e, v3
	v_lshl_or_b32 v3, s18, 7, v27
	v_mad_u64_u32 v[18:19], s[12:13], v3, s22, v[2:3]
	s_lshl_b32 s14, s21, 1
	s_and_b32 s13, s5, 0xffff
	s_mov_b32 s15, 0x20000
	s_mov_b32 s12, s4
	v_lshlrev_b32_e32 v10, 1, v4
	v_add_u32_e32 v11, s19, v4
	v_lshlrev_b32_e32 v12, 1, v11
	buffer_load_dwordx4 v[2:5], v10, s[12:15], 0 offen
	buffer_load_dwordx4 v[6:9], v12, s[12:15], 0 offen
	v_add_u32_e32 v10, s19, v11
	v_lshlrev_b32_e32 v19, 1, v10
	v_add_lshl_u32 v20, v10, s19, 1
	buffer_load_dwordx4 v[10:13], v19, s[12:15], 0 offen
	buffer_load_dwordx4 v[14:17], v20, s[12:15], 0 offen
	s_lshl_b32 s14, s23, 1
	s_and_b32 s13, s7, 0xffff
	s_mov_b32 s12, s6
	v_lshlrev_b32_e32 v28, 1, v18
	v_add_lshl_u32 v29, v18, s22, 1
	buffer_load_dwordx4 v[18:21], v28, s[12:15], 0 offen
	buffer_load_dwordx4 v[22:25], v29, s[12:15], 0 offen
	s_movk_i32 s4, 0x1010
	s_movk_i32 s7, 0x100
	v_and_b32_e32 v29, 0x80, v0
	v_lshlrev_b32_e32 v1, 4, v1
	s_movk_i32 s5, 0x810
	v_bfe_u32 v28, v0, 4, 2
	v_mad_u32_u24 v1, v26, s4, v1
	v_lshl_add_u32 v26, v27, 4, v32
	v_lshl_or_b32 v27, v29, 1, v33
	v_and_or_b32 v29, v30, s7, v33
	s_load_dword s6, s[0:1], 0x118
	s_load_dword s19, s[0:1], 0x128
	;; [unrolled: 1-line block ×3, first 2 shown]
	v_mad_u32_u24 v50, v28, s4, v27
	v_mad_u32_u24 v27, v28, s5, v29
	v_lshl_or_b32 v58, s18, 7, v64
	v_and_b32_e32 v0, 64, v0
	s_lshl_b32 s14, s3, 1
	s_and_b32 s13, s9, 0xffff
	s_mov_b32 s12, s8
	s_waitcnt lgkmcnt(0)
	s_lshl_b32 s6, s6, 1
	s_mov_b32 s7, s15
	s_mov_b32 s8, 0xc2ce8ed0
	;; [unrolled: 1-line block ×3, first 2 shown]
	s_load_dwordx2 s[0:1], s[0:1], 0x20
	s_lshl_b32 s2, s2, 1
	s_mov_b32 s3, s15
	s_lshl_b32 s18, s16, 5
	s_waitcnt vmcnt(5)
	ds_write_b128 v1, v[2:5]
	s_waitcnt vmcnt(4)
	ds_write_b128 v1, v[6:9] offset:16
	s_waitcnt vmcnt(3)
	ds_write_b128 v1, v[10:13] offset:32
	;; [unrolled: 2-line block ×5, first 2 shown]
	v_lshl_or_b32 v1, s20, 8, v59
	s_waitcnt lgkmcnt(0)
	s_barrier
	ds_read_b128 v[2:5], v27 offset:16432
	ds_read_b128 v[10:13], v27 offset:16944
	;; [unrolled: 1-line block ×4, first 2 shown]
	ds_read_b128 v[46:49], v50
	ds_read_b128 v[42:45], v50 offset:512
	ds_read_b128 v[38:41], v50 offset:1024
	ds_read_b128 v[34:37], v50 offset:1536
	ds_read_b128 v[30:33], v50 offset:2048
	ds_read_b128 v[26:29], v50 offset:2560
	ds_read_b128 v[22:25], v50 offset:3072
	ds_read_b128 v[6:9], v50 offset:3584
	v_mad_u64_u32 v[50:51], s[4:5], v1, s16, v[58:59]
	v_mad_u64_u32 v[52:53], s[4:5], v1, s17, v[58:59]
	v_lshlrev_b32_e32 v51, 7, v55
	v_lshlrev_b32_e32 v53, 2, v54
	s_waitcnt lgkmcnt(7)
	v_mfma_f32_16x16x32_f16 v[54:57], v[46:49], v[2:5], 0
	v_or3_b32 v53, v0, v51, v53
	s_waitcnt lgkmcnt(0)
	s_barrier
	s_nop 4
	ds_write2_b32 v53, v54, v55 offset1:32
	ds_write2_b32 v53, v56, v57 offset0:64 offset1:96
	v_lshlrev_b32_e32 v55, 1, v50
	s_waitcnt lgkmcnt(0)
	s_barrier
	buffer_load_dwordx2 v[60:61], v55, s[12:15], 0 offen
	s_and_b32 s5, s11, 0xffff
	s_mov_b32 s4, s10
	v_lshlrev_b32_e32 v68, 1, v52
	buffer_load_dwordx2 v[62:63], v68, s[4:7], 0 offen
	v_lshlrev_b32_e32 v0, 2, v64
	v_lshl_or_b32 v54, v59, 7, v0
	v_mad_u64_u32 v[0:1], s[20:21], v1, s19, v[58:59]
	ds_read_b128 v[56:59], v54
	s_mov_b32 s10, 0xbfcc4231
	s_mov_b32 s11, 0x3fb8aa3b
	v_mov_b32_e32 v51, 0x7f800000
	s_and_b32 s1, s1, 0xffff
	s_lshl_b32 s17, s17, 5
	s_lshl_b32 s16, s19, 5
	s_waitcnt vmcnt(1)
	v_cvt_f32_f16_e32 v64, v60
	v_cvt_f32_f16_sdwa v65, v60 dst_sel:DWORD dst_unused:UNUSED_PAD src0_sel:WORD_1
	v_cvt_f32_f16_e32 v60, v61
	v_cvt_f32_f16_sdwa v61, v61 dst_sel:DWORD dst_unused:UNUSED_PAD src0_sel:WORD_1
	s_waitcnt vmcnt(0)
	v_cvt_f32_f16_e32 v66, v62
	v_cvt_f32_f16_sdwa v67, v62 dst_sel:DWORD dst_unused:UNUSED_PAD src0_sel:WORD_1
	v_cvt_f32_f16_e32 v62, v63
	v_cvt_f32_f16_sdwa v63, v63 dst_sel:DWORD dst_unused:UNUSED_PAD src0_sel:WORD_1
	s_waitcnt lgkmcnt(0)
	v_pk_add_f32 v[56:57], v[56:57], v[64:65]
	v_pk_add_f32 v[58:59], v[58:59], v[60:61]
	;; [unrolled: 1-line block ×4, first 2 shown]
	v_mul_f32_e32 v1, 0x3d92220c, v60
	v_mul_f32_e32 v56, 0x3d92220c, v61
	v_fma_f32 v1, -v60, v1, s10
	v_mul_f32_e32 v57, 0x3d92220c, v62
	v_fma_f32 v56, -v61, v56, s10
	;; [unrolled: 2-line block ×3, first 2 shown]
	v_mul_f32_e32 v59, v61, v56
	v_mul_f32_e32 v56, 0x3fb8aa3b, v1
	;; [unrolled: 1-line block ×4, first 2 shown]
	v_fma_f32 v65, v1, s11, -v56
	v_rndne_f32_e32 v69, v56
	v_fma_f32 v70, v59, s11, -v57
	v_rndne_f32_e32 v71, v57
	v_fmac_f32_e32 v65, 0x32a5705f, v1
	v_sub_f32_e32 v56, v56, v69
	v_add_f32_e32 v56, v56, v65
	v_fmac_f32_e32 v70, 0x32a5705f, v59
	v_sub_f32_e32 v57, v57, v71
	v_mul_f32_e32 v58, 0x3d92220c, v63
	v_add_f32_e32 v57, v57, v70
	v_cvt_i32_f32_e32 v69, v69
	v_exp_f32_e32 v56, v56
	v_fma_f32 v58, -v63, v58, s10
	v_cvt_i32_f32_e32 v71, v71
	v_exp_f32_e32 v57, v57
	v_mul_f32_e32 v67, v63, v58
	v_mul_f32_e32 v58, 0x3fb8aa3b, v66
	v_fma_f32 v72, v66, s11, -v58
	v_rndne_f32_e32 v65, v58
	v_fmac_f32_e32 v72, 0x32a5705f, v66
	v_sub_f32_e32 v58, v58, v65
	v_ldexp_f32 v56, v56, v69
	v_cmp_ngt_f32_e32 vcc, s8, v1
	v_add_f32_e32 v58, v58, v72
	v_ldexp_f32 v57, v57, v71
	v_cndmask_b32_e32 v56, 0, v56, vcc
	v_cmp_ngt_f32_e32 vcc, s8, v59
	v_cvt_i32_f32_e32 v65, v65
	v_exp_f32_e32 v58, v58
	v_cndmask_b32_e32 v57, 0, v57, vcc
	v_cmp_nlt_f32_e32 vcc, s9, v1
	v_mul_f32_e32 v64, 0x3fb8aa3b, v67
	v_fma_f32 v70, v67, s11, -v64
	v_cndmask_b32_e32 v56, v51, v56, vcc
	v_cmp_nlt_f32_e32 vcc, s9, v59
	v_rndne_f32_e32 v72, v64
	v_fmac_f32_e32 v70, 0x32a5705f, v67
	v_cndmask_b32_e32 v57, v51, v57, vcc
	v_sub_f32_e32 v64, v64, v72
	v_pk_add_f32 v[56:57], v[56:57], 1.0 op_sel_hi:[1,0]
	v_add_f32_e32 v64, v64, v70
	v_ldexp_f32 v65, v58, v65
	v_frexp_mant_f32_e32 v1, v56
	v_frexp_mant_f32_e32 v70, v57
	v_cmp_ngt_f32_e32 vcc, s8, v66
	v_rcp_f32_e32 v1, v1
	v_cvt_i32_f32_e32 v72, v72
	v_cndmask_b32_e32 v74, 0, v65, vcc
	v_rcp_f32_e32 v65, v70
	v_exp_f32_e32 v73, v64
	v_frexp_exp_i32_f32_e32 v69, v56
	v_frexp_exp_i32_f32_e32 v71, v57
	v_sub_u32_e32 v64, 0, v69
	v_sub_u32_e32 v69, 0, v71
	v_ldexp_f32 v64, v1, v64
	v_ldexp_f32 v65, v65, v69
	v_cmp_nlt_f32_e32 vcc, s9, v66
	v_pk_mul_f32 v[60:61], v[60:61], v[64:65]
	v_ldexp_f32 v1, v73, v72
	v_cndmask_b32_e32 v64, v51, v74, vcc
	v_cmp_ngt_f32_e32 vcc, s8, v67
	v_cvt_pk_f16_f32 v60, v60, v61
	v_mfma_f32_16x16x32_f16 v[56:59], v[46:49], v[10:13], 0
	v_cndmask_b32_e32 v1, 0, v1, vcc
	v_cmp_nlt_f32_e32 vcc, s9, v67
	s_nop 1
	v_cndmask_b32_e32 v65, v51, v1, vcc
	v_pk_add_f32 v[64:65], v[64:65], 1.0 op_sel_hi:[1,0]
	s_nop 0
	v_frexp_mant_f32_e32 v1, v64
	v_rcp_f32_e32 v1, v1
	v_frexp_exp_i32_f32_e32 v61, v64
	v_frexp_mant_f32_e32 v64, v65
	v_rcp_f32_e32 v66, v64
	v_sub_u32_e32 v61, 0, v61
	v_ldexp_f32 v64, v1, v61
	v_frexp_exp_i32_f32_e32 v1, v65
	v_sub_u32_e32 v1, 0, v1
	v_ldexp_f32 v65, v66, v1
	v_pk_mul_f32 v[62:63], v[62:63], v[64:65]
	v_lshlrev_b32_e32 v1, 1, v0
	v_cvt_pk_f16_f32 v61, v62, v63
	buffer_store_dwordx2 v[60:61], v1, s[0:3], 0 offen
	s_waitcnt lgkmcnt(0)
	s_barrier
	ds_write2_b32 v53, v56, v57 offset1:32
	ds_write2_b32 v53, v58, v59 offset0:64 offset1:96
	s_waitcnt lgkmcnt(0)
	s_barrier
	buffer_load_dwordx2 v[60:61], v55, s[12:15], 0 offen offset:64
	buffer_load_dwordx2 v[62:63], v68, s[4:7], 0 offen offset:64
	ds_read_b128 v[56:59], v54
	s_waitcnt vmcnt(1)
	v_cvt_f32_f16_e32 v64, v60
	v_cvt_f32_f16_sdwa v65, v60 dst_sel:DWORD dst_unused:UNUSED_PAD src0_sel:WORD_1
	s_waitcnt vmcnt(0)
	v_cvt_f32_f16_e32 v66, v62
	v_cvt_f32_f16_sdwa v67, v62 dst_sel:DWORD dst_unused:UNUSED_PAD src0_sel:WORD_1
	v_cvt_f32_f16_e32 v60, v61
	v_cvt_f32_f16_sdwa v61, v61 dst_sel:DWORD dst_unused:UNUSED_PAD src0_sel:WORD_1
	s_waitcnt lgkmcnt(0)
	v_pk_add_f32 v[56:57], v[56:57], v[64:65]
	v_cvt_f32_f16_e32 v62, v63
	v_cvt_f32_f16_sdwa v63, v63 dst_sel:DWORD dst_unused:UNUSED_PAD src0_sel:WORD_1
	v_pk_add_f32 v[58:59], v[58:59], v[60:61]
	v_pk_add_f32 v[60:61], v[56:57], v[66:67]
	;; [unrolled: 1-line block ×3, first 2 shown]
	v_mul_f32_e32 v56, 0x3d92220c, v60
	v_mul_f32_e32 v57, 0x3d92220c, v61
	v_fma_f32 v56, -v60, v56, s10
	v_fma_f32 v57, -v61, v57, s10
	v_mul_f32_e32 v64, v60, v56
	v_mul_f32_e32 v65, v61, v57
	;; [unrolled: 1-line block ×4, first 2 shown]
	v_fma_f32 v59, v64, s11, -v56
	v_rndne_f32_e32 v67, v56
	v_fma_f32 v69, v65, s11, -v57
	v_rndne_f32_e32 v70, v57
	v_fmac_f32_e32 v59, 0x32a5705f, v64
	v_sub_f32_e32 v56, v56, v67
	v_fmac_f32_e32 v69, 0x32a5705f, v65
	v_sub_f32_e32 v57, v57, v70
	v_add_f32_e32 v56, v56, v59
	v_cvt_i32_f32_e32 v67, v67
	v_exp_f32_e32 v56, v56
	v_add_f32_e32 v57, v57, v69
	v_cvt_i32_f32_e32 v70, v70
	v_exp_f32_e32 v69, v57
	v_ldexp_f32 v67, v56, v67
	v_cmp_ngt_f32_e32 vcc, s8, v64
	v_mul_f32_e32 v58, 0x3d92220c, v62
	v_ldexp_f32 v69, v69, v70
	v_cndmask_b32_e32 v67, 0, v67, vcc
	v_cmp_ngt_f32_e32 vcc, s8, v65
	v_fma_f32 v58, -v62, v58, s10
	v_mul_f32_e32 v66, v62, v58
	v_cndmask_b32_e32 v69, 0, v69, vcc
	v_cmp_nlt_f32_e32 vcc, s9, v64
	v_mul_f32_e32 v70, 0x3d92220c, v63
	v_mul_f32_e32 v58, 0x3fb8aa3b, v66
	v_cndmask_b32_e32 v64, v51, v67, vcc
	v_cmp_nlt_f32_e32 vcc, s9, v65
	v_fma_f32 v70, -v63, v70, s10
	v_fma_f32 v71, v66, s11, -v58
	v_cndmask_b32_e32 v65, v51, v69, vcc
	v_pk_add_f32 v[64:65], v[64:65], 1.0 op_sel_hi:[1,0]
	v_rndne_f32_e32 v72, v58
	v_frexp_mant_f32_e32 v67, v64
	v_frexp_mant_f32_e32 v69, v65
	v_rcp_f32_e32 v67, v67
	v_rcp_f32_e32 v69, v69
	v_frexp_exp_i32_f32_e32 v64, v64
	v_frexp_exp_i32_f32_e32 v65, v65
	v_sub_u32_e32 v64, 0, v64
	v_sub_u32_e32 v65, 0, v65
	v_mul_f32_e32 v70, v63, v70
	v_ldexp_f32 v64, v67, v64
	v_ldexp_f32 v65, v69, v65
	v_fmac_f32_e32 v71, 0x32a5705f, v66
	v_sub_f32_e32 v58, v58, v72
	v_mul_f32_e32 v67, 0x3fb8aa3b, v70
	v_pk_mul_f32 v[60:61], v[60:61], v[64:65]
	v_add_f32_e32 v71, v58, v71
	v_fma_f32 v69, v70, s11, -v67
	v_cvt_pk_f16_f32 v60, v60, v61
	v_rndne_f32_e32 v61, v67
	v_cvt_i32_f32_e32 v72, v72
	v_exp_f32_e32 v71, v71
	v_fmac_f32_e32 v69, 0x32a5705f, v70
	v_sub_f32_e32 v64, v67, v61
	v_add_f32_e32 v64, v64, v69
	v_exp_f32_e32 v65, v64
	v_cvt_i32_f32_e32 v61, v61
	v_ldexp_f32 v71, v71, v72
	v_cmp_ngt_f32_e32 vcc, s8, v66
	v_mfma_f32_16x16x32_f16 v[56:59], v[46:49], v[14:17], 0
	v_ldexp_f32 v61, v65, v61
	v_cndmask_b32_e32 v64, 0, v71, vcc
	v_cmp_nlt_f32_e32 vcc, s9, v66
	v_mfma_f32_16x16x32_f16 v[46:49], v[46:49], v[18:21], 0
	s_nop 0
	v_cndmask_b32_e32 v64, v51, v64, vcc
	v_cmp_ngt_f32_e32 vcc, s8, v70
	s_nop 1
	v_cndmask_b32_e32 v61, 0, v61, vcc
	v_cmp_nlt_f32_e32 vcc, s9, v70
	s_nop 1
	v_cndmask_b32_e32 v65, v51, v61, vcc
	v_pk_add_f32 v[64:65], v[64:65], 1.0 op_sel_hi:[1,0]
	s_nop 0
	v_frexp_mant_f32_e32 v61, v64
	v_rcp_f32_e32 v61, v61
	v_frexp_mant_f32_e32 v66, v65
	v_frexp_exp_i32_f32_e32 v64, v64
	v_rcp_f32_e32 v66, v66
	v_sub_u32_e32 v64, 0, v64
	v_ldexp_f32 v64, v61, v64
	v_frexp_exp_i32_f32_e32 v61, v65
	v_sub_u32_e32 v61, 0, v61
	v_ldexp_f32 v65, v66, v61
	v_pk_mul_f32 v[62:63], v[62:63], v[64:65]
	s_nop 0
	v_cvt_pk_f16_f32 v61, v62, v63
	buffer_store_dwordx2 v[60:61], v1, s[0:3], 0 offen offset:64
	s_waitcnt lgkmcnt(0)
	s_barrier
	ds_write2_b32 v53, v56, v57 offset1:32
	ds_write2_b32 v53, v58, v59 offset0:64 offset1:96
	s_waitcnt lgkmcnt(0)
	s_barrier
	buffer_load_dwordx2 v[60:61], v55, s[12:15], 0 offen offset:128
	buffer_load_dwordx2 v[62:63], v68, s[4:7], 0 offen offset:128
	ds_read_b128 v[56:59], v54
	s_waitcnt vmcnt(1)
	v_cvt_f32_f16_e32 v64, v60
	v_cvt_f32_f16_sdwa v65, v60 dst_sel:DWORD dst_unused:UNUSED_PAD src0_sel:WORD_1
	s_waitcnt vmcnt(0)
	v_cvt_f32_f16_e32 v66, v62
	v_cvt_f32_f16_sdwa v67, v62 dst_sel:DWORD dst_unused:UNUSED_PAD src0_sel:WORD_1
	v_cvt_f32_f16_e32 v60, v61
	v_cvt_f32_f16_sdwa v61, v61 dst_sel:DWORD dst_unused:UNUSED_PAD src0_sel:WORD_1
	;; [unrolled: 2-line block ×3, first 2 shown]
	s_waitcnt lgkmcnt(0)
	v_pk_add_f32 v[56:57], v[56:57], v[64:65]
	v_pk_add_f32 v[58:59], v[58:59], v[60:61]
	;; [unrolled: 1-line block ×4, first 2 shown]
	v_mul_f32_e32 v55, 0x3d92220c, v56
	v_mul_f32_e32 v60, 0x3d92220c, v57
	v_fma_f32 v55, -v56, v55, s10
	v_mul_f32_e32 v61, 0x3d92220c, v58
	v_fma_f32 v60, -v57, v60, s10
	;; [unrolled: 2-line block ×3, first 2 shown]
	v_mul_f32_e32 v62, v57, v60
	v_mul_f32_e32 v60, 0x3fb8aa3b, v55
	;; [unrolled: 1-line block ×4, first 2 shown]
	v_fma_f32 v65, v55, s11, -v60
	v_rndne_f32_e32 v66, v60
	v_fma_f32 v67, v62, s11, -v61
	v_rndne_f32_e32 v68, v61
	v_fmac_f32_e32 v65, 0x32a5705f, v55
	v_sub_f32_e32 v60, v60, v66
	v_fmac_f32_e32 v67, 0x32a5705f, v62
	v_sub_f32_e32 v61, v61, v68
	v_add_f32_e32 v60, v60, v65
	v_cvt_i32_f32_e32 v66, v66
	v_add_f32_e32 v61, v61, v67
	v_exp_f32_e32 v60, v60
	v_cvt_i32_f32_e32 v68, v68
	v_exp_f32_e32 v61, v61
	v_cmp_ngt_f32_e32 vcc, s8, v55
	v_ldexp_f32 v60, v60, v66
	v_mul_f32_e32 v65, 0x3d92220c, v59
	v_ldexp_f32 v61, v61, v68
	v_cndmask_b32_e32 v60, 0, v60, vcc
	v_cmp_ngt_f32_e32 vcc, s8, v62
	v_mul_f32_e32 v64, 0x3fb8aa3b, v63
	v_fma_f32 v69, v63, s11, -v64
	v_cndmask_b32_e32 v61, 0, v61, vcc
	v_cmp_nlt_f32_e32 vcc, s9, v55
	v_rndne_f32_e32 v70, v64
	v_fmac_f32_e32 v69, 0x32a5705f, v63
	v_cndmask_b32_e32 v60, v51, v60, vcc
	v_cmp_nlt_f32_e32 vcc, s9, v62
	v_sub_f32_e32 v64, v64, v70
	v_add_f32_e32 v64, v64, v69
	v_cndmask_b32_e32 v61, v51, v61, vcc
	v_pk_add_f32 v[60:61], v[60:61], 1.0 op_sel_hi:[1,0]
	v_cvt_i32_f32_e32 v70, v70
	v_frexp_mant_f32_e32 v55, v60
	v_frexp_mant_f32_e32 v62, v61
	v_rcp_f32_e32 v55, v55
	v_rcp_f32_e32 v62, v62
	v_frexp_exp_i32_f32_e32 v60, v60
	v_frexp_exp_i32_f32_e32 v61, v61
	v_sub_u32_e32 v60, 0, v60
	v_sub_u32_e32 v61, 0, v61
	v_ldexp_f32 v60, v55, v60
	v_ldexp_f32 v61, v62, v61
	v_fma_f32 v55, -v59, v65, s10
	v_pk_mul_f32 v[56:57], v[56:57], v[60:61]
	v_mul_f32_e32 v55, v59, v55
	v_cvt_pk_f16_f32 v56, v56, v57
	v_mul_f32_e32 v57, 0x3fb8aa3b, v55
	v_fma_f32 v60, v55, s11, -v57
	v_rndne_f32_e32 v61, v57
	v_exp_f32_e32 v64, v64
	v_fmac_f32_e32 v60, 0x32a5705f, v55
	v_sub_f32_e32 v57, v57, v61
	v_add_f32_e32 v57, v57, v60
	v_exp_f32_e32 v57, v57
	v_cvt_i32_f32_e32 v61, v61
	v_ldexp_f32 v64, v64, v70
	v_cmp_ngt_f32_e32 vcc, s8, v63
	v_add_u32_e32 v68, 0x60, v0
	v_ldexp_f32 v57, v57, v61
	v_cndmask_b32_e32 v60, 0, v64, vcc
	v_cmp_nlt_f32_e32 vcc, s9, v63
	s_nop 1
	v_cndmask_b32_e32 v60, v51, v60, vcc
	v_cmp_ngt_f32_e32 vcc, s8, v55
	s_nop 1
	v_cndmask_b32_e32 v57, 0, v57, vcc
	v_cmp_nlt_f32_e32 vcc, s9, v55
	s_nop 1
	v_cndmask_b32_e32 v61, v51, v57, vcc
	v_pk_add_f32 v[60:61], v[60:61], 1.0 op_sel_hi:[1,0]
	s_nop 0
	v_frexp_mant_f32_e32 v55, v60
	v_rcp_f32_e32 v55, v55
	v_frexp_exp_i32_f32_e32 v57, v60
	v_frexp_mant_f32_e32 v60, v61
	v_rcp_f32_e32 v62, v60
	v_sub_u32_e32 v57, 0, v57
	v_ldexp_f32 v60, v55, v57
	v_frexp_exp_i32_f32_e32 v55, v61
	v_sub_u32_e32 v55, 0, v55
	v_ldexp_f32 v61, v62, v55
	v_pk_mul_f32 v[58:59], v[58:59], v[60:61]
	v_add_u32_e32 v55, 0x60, v52
	v_cvt_pk_f16_f32 v57, v58, v59
	buffer_store_dwordx2 v[56:57], v1, s[0:3], 0 offen offset:128
	v_add_u32_e32 v1, 0x60, v50
	s_waitcnt lgkmcnt(0)
	s_barrier
	ds_write2_b32 v53, v46, v47 offset1:32
	ds_write2_b32 v53, v48, v49 offset0:64 offset1:96
	v_lshlrev_b32_e32 v46, 1, v1
	s_waitcnt lgkmcnt(0)
	s_barrier
	buffer_load_dwordx2 v[60:61], v46, s[12:15], 0 offen
	v_lshlrev_b32_e32 v46, 1, v55
	buffer_load_dwordx2 v[62:63], v46, s[4:7], 0 offen
	ds_read_b128 v[56:59], v54
	v_mfma_f32_16x16x32_f16 v[46:49], v[42:45], v[18:21], 0
	v_add_lshl_u32 v1, v1, s18, 1
	v_add_lshl_u32 v55, v55, s17, 1
	v_add_u32_e32 v50, s18, v50
	v_add_u32_e32 v52, s17, v52
	s_waitcnt vmcnt(1)
	v_cvt_f32_f16_e32 v64, v60
	v_cvt_f32_f16_sdwa v65, v60 dst_sel:DWORD dst_unused:UNUSED_PAD src0_sel:WORD_1
	s_waitcnt vmcnt(0)
	v_cvt_f32_f16_e32 v66, v62
	v_cvt_f32_f16_sdwa v67, v62 dst_sel:DWORD dst_unused:UNUSED_PAD src0_sel:WORD_1
	v_cvt_f32_f16_e32 v60, v61
	v_cvt_f32_f16_sdwa v61, v61 dst_sel:DWORD dst_unused:UNUSED_PAD src0_sel:WORD_1
	s_waitcnt lgkmcnt(0)
	v_pk_add_f32 v[56:57], v[56:57], v[64:65]
	v_cvt_f32_f16_e32 v62, v63
	v_cvt_f32_f16_sdwa v63, v63 dst_sel:DWORD dst_unused:UNUSED_PAD src0_sel:WORD_1
	v_pk_add_f32 v[56:57], v[56:57], v[66:67]
	v_pk_add_f32 v[58:59], v[58:59], v[60:61]
	v_mul_f32_e32 v60, 0x3d92220c, v56
	v_mul_f32_e32 v61, 0x3d92220c, v57
	v_fma_f32 v60, -v56, v60, s10
	v_fma_f32 v61, -v57, v61, s10
	v_mul_f32_e32 v60, v56, v60
	v_pk_add_f32 v[58:59], v[58:59], v[62:63]
	v_mul_f32_e32 v61, v57, v61
	v_mul_f32_e32 v63, 0x3fb8aa3b, v60
	v_mul_f32_e32 v64, 0x3fb8aa3b, v61
	v_fma_f32 v65, v60, s11, -v63
	v_rndne_f32_e32 v66, v63
	v_fma_f32 v67, v61, s11, -v64
	v_rndne_f32_e32 v69, v64
	v_fmac_f32_e32 v65, 0x32a5705f, v60
	v_sub_f32_e32 v63, v63, v66
	v_fmac_f32_e32 v67, 0x32a5705f, v61
	v_sub_f32_e32 v64, v64, v69
	v_add_f32_e32 v63, v63, v65
	v_cvt_i32_f32_e32 v66, v66
	v_add_f32_e32 v64, v64, v67
	v_exp_f32_e32 v63, v63
	v_cvt_i32_f32_e32 v69, v69
	v_exp_f32_e32 v64, v64
	v_cmp_ngt_f32_e32 vcc, s8, v60
	v_ldexp_f32 v63, v63, v66
	v_mul_f32_e32 v62, 0x3d92220c, v58
	v_ldexp_f32 v64, v64, v69
	v_cndmask_b32_e32 v63, 0, v63, vcc
	v_cmp_ngt_f32_e32 vcc, s8, v61
	v_fma_f32 v62, -v58, v62, s10
	v_mul_f32_e32 v62, v58, v62
	v_cndmask_b32_e32 v64, 0, v64, vcc
	v_cmp_nlt_f32_e32 vcc, s9, v60
	v_mul_f32_e32 v65, 0x3fb8aa3b, v62
	v_fma_f32 v67, v62, s11, -v65
	v_cndmask_b32_e32 v60, v51, v63, vcc
	v_cmp_nlt_f32_e32 vcc, s9, v61
	v_fmac_f32_e32 v67, 0x32a5705f, v62
	s_nop 0
	v_cndmask_b32_e32 v61, v51, v64, vcc
	v_pk_add_f32 v[60:61], v[60:61], 1.0 op_sel_hi:[1,0]
	v_cmp_ngt_f32_e32 vcc, s8, v62
	v_frexp_mant_f32_e32 v63, v60
	v_rcp_f32_e32 v63, v63
	v_frexp_mant_f32_e32 v64, v61
	v_frexp_exp_i32_f32_e32 v60, v60
	v_rcp_f32_e32 v64, v64
	v_sub_u32_e32 v60, 0, v60
	v_frexp_exp_i32_f32_e32 v61, v61
	v_ldexp_f32 v60, v63, v60
	v_rndne_f32_e32 v63, v65
	v_sub_u32_e32 v61, 0, v61
	v_sub_f32_e32 v65, v65, v63
	v_add_f32_e32 v65, v65, v67
	v_ldexp_f32 v61, v64, v61
	v_exp_f32_e32 v65, v65
	v_cvt_i32_f32_e32 v63, v63
	v_pk_mul_f32 v[56:57], v[56:57], v[60:61]
	v_mul_f32_e32 v60, 0x3d92220c, v59
	v_fma_f32 v60, -v59, v60, s10
	v_mul_f32_e32 v61, v59, v60
	v_mul_f32_e32 v60, 0x3fb8aa3b, v61
	v_cvt_pk_f16_f32 v56, v56, v57
	v_ldexp_f32 v57, v65, v63
	v_fma_f32 v63, v61, s11, -v60
	v_rndne_f32_e32 v64, v60
	v_fmac_f32_e32 v63, 0x32a5705f, v61
	v_sub_f32_e32 v60, v60, v64
	v_add_f32_e32 v60, v60, v63
	v_exp_f32_e32 v63, v60
	v_cvt_i32_f32_e32 v64, v64
	v_cndmask_b32_e32 v57, 0, v57, vcc
	v_cmp_nlt_f32_e32 vcc, s9, v62
	s_nop 1
	v_cndmask_b32_e32 v60, v51, v57, vcc
	v_ldexp_f32 v57, v63, v64
	v_cmp_ngt_f32_e32 vcc, s8, v61
	s_nop 1
	v_cndmask_b32_e32 v57, 0, v57, vcc
	v_cmp_nlt_f32_e32 vcc, s9, v61
	s_nop 1
	v_cndmask_b32_e32 v61, v51, v57, vcc
	v_pk_add_f32 v[60:61], v[60:61], 1.0 op_sel_hi:[1,0]
	s_nop 0
	v_frexp_mant_f32_e32 v57, v60
	v_rcp_f32_e32 v57, v57
	v_frexp_mant_f32_e32 v62, v61
	v_frexp_exp_i32_f32_e32 v60, v60
	v_rcp_f32_e32 v62, v62
	v_sub_u32_e32 v60, 0, v60
	v_ldexp_f32 v60, v57, v60
	v_frexp_exp_i32_f32_e32 v57, v61
	v_sub_u32_e32 v57, 0, v57
	v_ldexp_f32 v61, v62, v57
	v_pk_mul_f32 v[58:59], v[58:59], v[60:61]
	s_nop 0
	v_cvt_pk_f16_f32 v57, v58, v59
	v_lshlrev_b32_e32 v58, 1, v68
	buffer_store_dwordx2 v[56:57], v58, s[0:3], 0 offen
	s_waitcnt lgkmcnt(0)
	s_barrier
	ds_write2_b32 v53, v46, v47 offset1:32
	ds_write2_b32 v53, v48, v49 offset0:64 offset1:96
	s_waitcnt lgkmcnt(0)
	s_barrier
	buffer_load_dwordx2 v[56:57], v1, s[12:15], 0 offen
	buffer_load_dwordx2 v[60:61], v55, s[4:7], 0 offen
	ds_read_b128 v[46:49], v54
	s_waitcnt vmcnt(1)
	v_cvt_f32_f16_e32 v58, v56
	v_cvt_f32_f16_sdwa v59, v56 dst_sel:DWORD dst_unused:UNUSED_PAD src0_sel:WORD_1
	s_waitcnt vmcnt(0)
	v_cvt_f32_f16_e32 v62, v60
	v_cvt_f32_f16_sdwa v63, v60 dst_sel:DWORD dst_unused:UNUSED_PAD src0_sel:WORD_1
	v_cvt_f32_f16_e32 v64, v57
	s_waitcnt lgkmcnt(0)
	v_pk_add_f32 v[46:47], v[46:47], v[58:59]
	s_nop 0
	v_pk_add_f32 v[46:47], v[46:47], v[62:63]
	s_nop 0
	v_mul_f32_e32 v56, 0x3d92220c, v46
	v_mul_f32_e32 v58, 0x3d92220c, v47
	v_fma_f32 v56, -v46, v56, s10
	v_fma_f32 v58, -v47, v58, s10
	v_mul_f32_e32 v60, v46, v56
	v_mul_f32_e32 v63, v47, v58
	;; [unrolled: 1-line block ×4, first 2 shown]
	v_fma_f32 v59, v60, s11, -v56
	v_rndne_f32_e32 v62, v56
	v_fma_f32 v65, v63, s11, -v58
	v_rndne_f32_e32 v66, v58
	v_fmac_f32_e32 v59, 0x32a5705f, v60
	v_sub_f32_e32 v56, v56, v62
	v_fmac_f32_e32 v65, 0x32a5705f, v63
	v_sub_f32_e32 v58, v58, v66
	v_add_f32_e32 v56, v56, v59
	v_cvt_i32_f32_e32 v62, v62
	v_add_f32_e32 v58, v58, v65
	v_exp_f32_e32 v67, v56
	v_cvt_i32_f32_e32 v66, v66
	v_exp_f32_e32 v69, v58
	v_cmp_ngt_f32_e32 vcc, s8, v60
	v_ldexp_f32 v62, v67, v62
	v_cvt_f32_f16_sdwa v65, v57 dst_sel:DWORD dst_unused:UNUSED_PAD src0_sel:WORD_1
	v_ldexp_f32 v66, v69, v66
	v_cndmask_b32_e32 v62, 0, v62, vcc
	v_cmp_ngt_f32_e32 vcc, s8, v63
	v_pk_add_f32 v[48:49], v[48:49], v[64:65]
	v_mfma_f32_16x16x32_f16 v[56:59], v[42:45], v[14:17], 0
	v_cndmask_b32_e32 v66, 0, v66, vcc
	v_cmp_nlt_f32_e32 vcc, s9, v60
	s_nop 1
	v_cndmask_b32_e32 v62, v51, v62, vcc
	v_cmp_nlt_f32_e32 vcc, s9, v63
	s_nop 1
	v_cndmask_b32_e32 v63, v51, v66, vcc
	v_pk_add_f32 v[62:63], v[62:63], 1.0 op_sel_hi:[1,0]
	s_nop 0
	v_frexp_mant_f32_e32 v60, v62
	v_rcp_f32_e32 v67, v60
	v_cvt_f32_f16_e32 v60, v61
	v_cvt_f32_f16_sdwa v61, v61 dst_sel:DWORD dst_unused:UNUSED_PAD src0_sel:WORD_1
	v_frexp_mant_f32_e32 v66, v63
	v_rcp_f32_e32 v66, v66
	v_frexp_exp_i32_f32_e32 v62, v62
	v_pk_add_f32 v[48:49], v[48:49], v[60:61]
	v_frexp_exp_i32_f32_e32 v63, v63
	v_mul_f32_e32 v60, 0x3d92220c, v48
	v_fma_f32 v60, -v48, v60, s10
	v_mul_f32_e32 v60, v48, v60
	v_mul_f32_e32 v61, 0x3fb8aa3b, v60
	v_fma_f32 v64, v60, s11, -v61
	v_rndne_f32_e32 v65, v61
	v_fmac_f32_e32 v64, 0x32a5705f, v60
	v_sub_f32_e32 v61, v61, v65
	v_add_f32_e32 v61, v61, v64
	v_exp_f32_e32 v61, v61
	v_cvt_i32_f32_e32 v64, v65
	v_sub_u32_e32 v62, 0, v62
	v_sub_u32_e32 v63, 0, v63
	v_ldexp_f32 v62, v67, v62
	v_ldexp_f32 v63, v66, v63
	v_pk_mul_f32 v[46:47], v[46:47], v[62:63]
	v_cmp_ngt_f32_e32 vcc, s8, v60
	v_cvt_pk_f16_f32 v46, v46, v47
	v_ldexp_f32 v47, v61, v64
	v_mul_f32_e32 v61, 0x3d92220c, v49
	v_fma_f32 v61, -v49, v61, s10
	v_mul_f32_e32 v61, v49, v61
	v_mul_f32_e32 v62, 0x3fb8aa3b, v61
	v_fma_f32 v63, v61, s11, -v62
	v_rndne_f32_e32 v64, v62
	v_fmac_f32_e32 v63, 0x32a5705f, v61
	v_sub_f32_e32 v62, v62, v64
	v_add_f32_e32 v62, v62, v63
	v_exp_f32_e32 v62, v62
	v_cvt_i32_f32_e32 v63, v64
	v_cndmask_b32_e32 v47, 0, v47, vcc
	v_cmp_nlt_f32_e32 vcc, s9, v60
	v_add_lshl_u32 v66, v68, s16, 1
	s_nop 0
	v_cndmask_b32_e32 v60, v51, v47, vcc
	v_ldexp_f32 v47, v62, v63
	v_cmp_ngt_f32_e32 vcc, s8, v61
	s_nop 1
	v_cndmask_b32_e32 v47, 0, v47, vcc
	v_cmp_nlt_f32_e32 vcc, s9, v61
	s_nop 1
	v_cndmask_b32_e32 v61, v51, v47, vcc
	v_pk_add_f32 v[60:61], v[60:61], 1.0 op_sel_hi:[1,0]
	s_nop 0
	v_frexp_mant_f32_e32 v47, v60
	v_rcp_f32_e32 v47, v47
	v_frexp_mant_f32_e32 v62, v61
	v_frexp_exp_i32_f32_e32 v60, v60
	v_rcp_f32_e32 v62, v62
	v_sub_u32_e32 v60, 0, v60
	v_ldexp_f32 v60, v47, v60
	v_frexp_exp_i32_f32_e32 v47, v61
	v_sub_u32_e32 v47, 0, v47
	v_ldexp_f32 v61, v62, v47
	v_pk_mul_f32 v[48:49], v[48:49], v[60:61]
	s_nop 0
	v_cvt_pk_f16_f32 v47, v48, v49
	buffer_store_dwordx2 v[46:47], v66, s[0:3], 0 offen
	v_subrev_u32_e32 v46, 64, v1
	s_waitcnt lgkmcnt(0)
	s_barrier
	ds_write2_b32 v53, v56, v57 offset1:32
	ds_write2_b32 v53, v58, v59 offset0:64 offset1:96
	s_waitcnt lgkmcnt(0)
	s_barrier
	buffer_load_dwordx2 v[60:61], v46, s[12:15], 0 offen
	v_subrev_u32_e32 v46, 64, v55
	buffer_load_dwordx2 v[62:63], v46, s[4:7], 0 offen
	ds_read_b128 v[46:49], v54
	v_add_u32_e32 v1, 0xffffff80, v1
	s_waitcnt vmcnt(1)
	v_cvt_f32_f16_e32 v56, v60
	v_cvt_f32_f16_sdwa v57, v60 dst_sel:DWORD dst_unused:UNUSED_PAD src0_sel:WORD_1
	s_waitcnt vmcnt(0)
	v_cvt_f32_f16_e32 v58, v62
	v_cvt_f32_f16_sdwa v59, v62 dst_sel:DWORD dst_unused:UNUSED_PAD src0_sel:WORD_1
	s_waitcnt lgkmcnt(0)
	v_pk_add_f32 v[46:47], v[46:47], v[56:57]
	s_nop 0
	v_pk_add_f32 v[46:47], v[46:47], v[58:59]
	s_nop 0
	v_mul_f32_e32 v56, 0x3d92220c, v46
	v_mul_f32_e32 v57, 0x3d92220c, v47
	v_fma_f32 v56, -v46, v56, s10
	v_fma_f32 v57, -v47, v57, s10
	v_mul_f32_e32 v56, v46, v56
	v_mul_f32_e32 v57, v47, v57
	;; [unrolled: 1-line block ×4, first 2 shown]
	v_fma_f32 v60, v56, s11, -v58
	v_rndne_f32_e32 v62, v58
	v_fma_f32 v64, v57, s11, -v59
	v_rndne_f32_e32 v65, v59
	v_fmac_f32_e32 v60, 0x32a5705f, v56
	v_sub_f32_e32 v58, v58, v62
	v_fmac_f32_e32 v64, 0x32a5705f, v57
	v_sub_f32_e32 v59, v59, v65
	v_add_f32_e32 v58, v58, v60
	v_cvt_i32_f32_e32 v62, v62
	v_add_f32_e32 v59, v59, v64
	v_exp_f32_e32 v58, v58
	v_cvt_i32_f32_e32 v65, v65
	v_exp_f32_e32 v59, v59
	v_cmp_ngt_f32_e32 vcc, s8, v56
	v_ldexp_f32 v58, v58, v62
	v_ldexp_f32 v59, v59, v65
	v_cndmask_b32_e32 v58, 0, v58, vcc
	v_cmp_ngt_f32_e32 vcc, s8, v57
	s_nop 1
	v_cndmask_b32_e32 v59, 0, v59, vcc
	v_cmp_nlt_f32_e32 vcc, s9, v56
	s_nop 1
	v_cndmask_b32_e32 v56, v51, v58, vcc
	v_cmp_nlt_f32_e32 vcc, s9, v57
	s_nop 1
	v_cndmask_b32_e32 v57, v51, v59, vcc
	v_pk_add_f32 v[64:65], v[56:57], 1.0 op_sel_hi:[1,0]
	s_nop 0
	v_frexp_mant_f32_e32 v56, v64
	v_rcp_f32_e32 v60, v56
	v_frexp_exp_i32_f32_e32 v62, v64
	v_sub_u32_e32 v62, 0, v62
	v_frexp_mant_f32_e32 v67, v65
	v_frexp_exp_i32_f32_e32 v68, v65
	v_cvt_f32_f16_e32 v64, v61
	v_cvt_f32_f16_sdwa v65, v61 dst_sel:DWORD dst_unused:UNUSED_PAD src0_sel:WORD_1
	v_ldexp_f32 v60, v60, v62
	v_cvt_f32_f16_e32 v62, v63
	v_cvt_f32_f16_sdwa v63, v63 dst_sel:DWORD dst_unused:UNUSED_PAD src0_sel:WORD_1
	v_pk_add_f32 v[48:49], v[48:49], v[64:65]
	v_rcp_f32_e32 v67, v67
	v_sub_u32_e32 v61, 0, v68
	v_pk_add_f32 v[48:49], v[48:49], v[62:63]
	v_mfma_f32_16x16x32_f16 v[56:59], v[42:45], v[10:13], 0
	v_mul_f32_e32 v62, 0x3d92220c, v48
	v_fma_f32 v62, -v48, v62, s10
	v_mul_f32_e32 v62, v48, v62
	v_mul_f32_e32 v63, 0x3fb8aa3b, v62
	v_fma_f32 v64, v62, s11, -v63
	v_rndne_f32_e32 v65, v63
	v_fmac_f32_e32 v64, 0x32a5705f, v62
	v_sub_f32_e32 v63, v63, v65
	v_add_f32_e32 v63, v63, v64
	v_ldexp_f32 v61, v67, v61
	v_exp_f32_e32 v63, v63
	v_cvt_i32_f32_e32 v64, v65
	v_pk_mul_f32 v[46:47], v[46:47], v[60:61]
	v_mul_f32_e32 v60, 0x3d92220c, v49
	v_fma_f32 v60, -v49, v60, s10
	v_mul_f32_e32 v61, v49, v60
	v_mul_f32_e32 v60, 0x3fb8aa3b, v61
	v_cvt_pk_f16_f32 v46, v46, v47
	v_ldexp_f32 v47, v63, v64
	v_fma_f32 v63, v61, s11, -v60
	v_rndne_f32_e32 v64, v60
	v_fmac_f32_e32 v63, 0x32a5705f, v61
	v_sub_f32_e32 v60, v60, v64
	v_add_f32_e32 v60, v60, v63
	v_exp_f32_e32 v63, v60
	v_cvt_i32_f32_e32 v64, v64
	v_cmp_ngt_f32_e32 vcc, s8, v62
	v_mfma_f32_16x16x32_f16 v[42:45], v[42:45], v[2:5], 0
	s_nop 0
	v_cndmask_b32_e32 v47, 0, v47, vcc
	v_cmp_nlt_f32_e32 vcc, s9, v62
	s_nop 1
	v_cndmask_b32_e32 v60, v51, v47, vcc
	v_ldexp_f32 v47, v63, v64
	v_cmp_ngt_f32_e32 vcc, s8, v61
	s_nop 1
	v_cndmask_b32_e32 v47, 0, v47, vcc
	v_cmp_nlt_f32_e32 vcc, s9, v61
	s_nop 1
	v_cndmask_b32_e32 v61, v51, v47, vcc
	v_pk_add_f32 v[60:61], v[60:61], 1.0 op_sel_hi:[1,0]
	s_nop 0
	v_frexp_mant_f32_e32 v47, v60
	v_rcp_f32_e32 v47, v47
	v_frexp_mant_f32_e32 v62, v61
	v_frexp_exp_i32_f32_e32 v60, v60
	v_rcp_f32_e32 v62, v62
	v_sub_u32_e32 v60, 0, v60
	v_ldexp_f32 v60, v47, v60
	v_frexp_exp_i32_f32_e32 v47, v61
	v_sub_u32_e32 v47, 0, v47
	v_ldexp_f32 v61, v62, v47
	v_pk_mul_f32 v[48:49], v[48:49], v[60:61]
	s_nop 0
	v_cvt_pk_f16_f32 v47, v48, v49
	v_subrev_u32_e32 v48, 64, v66
	buffer_store_dwordx2 v[46:47], v48, s[0:3], 0 offen
	s_waitcnt lgkmcnt(0)
	s_barrier
	ds_write2_b32 v53, v56, v57 offset1:32
	ds_write2_b32 v53, v58, v59 offset0:64 offset1:96
	s_waitcnt lgkmcnt(0)
	s_barrier
	buffer_load_dwordx2 v[56:57], v1, s[12:15], 0 offen
	v_add_u32_e32 v1, 0xffffff80, v55
	buffer_load_dwordx2 v[58:59], v1, s[4:7], 0 offen
	ds_read_b128 v[46:49], v54
	s_waitcnt vmcnt(1)
	v_cvt_f32_f16_e32 v60, v56
	v_cvt_f32_f16_sdwa v61, v56 dst_sel:DWORD dst_unused:UNUSED_PAD src0_sel:WORD_1
	s_waitcnt vmcnt(0)
	v_cvt_f32_f16_e32 v62, v58
	v_cvt_f32_f16_sdwa v63, v58 dst_sel:DWORD dst_unused:UNUSED_PAD src0_sel:WORD_1
	s_waitcnt lgkmcnt(0)
	v_pk_add_f32 v[46:47], v[46:47], v[60:61]
	s_nop 0
	v_pk_add_f32 v[46:47], v[46:47], v[62:63]
	s_nop 0
	v_mul_f32_e32 v1, 0x3d92220c, v46
	v_fma_f32 v1, -v46, v1, s10
	v_mul_f32_e32 v1, v46, v1
	v_mul_f32_e32 v56, 0x3fb8aa3b, v1
	;; [unrolled: 1-line block ×3, first 2 shown]
	v_fma_f32 v60, v1, s11, -v56
	v_rndne_f32_e32 v61, v56
	v_fma_f32 v55, -v47, v55, s10
	v_fmac_f32_e32 v60, 0x32a5705f, v1
	v_sub_f32_e32 v56, v56, v61
	v_mul_f32_e32 v55, v47, v55
	v_add_f32_e32 v56, v56, v60
	v_mul_f32_e32 v58, 0x3fb8aa3b, v55
	v_cvt_i32_f32_e32 v61, v61
	v_exp_f32_e32 v56, v56
	v_fma_f32 v62, v55, s11, -v58
	v_rndne_f32_e32 v63, v58
	v_fmac_f32_e32 v62, 0x32a5705f, v55
	v_sub_f32_e32 v58, v58, v63
	v_add_f32_e32 v58, v58, v62
	v_ldexp_f32 v56, v56, v61
	v_exp_f32_e32 v58, v58
	v_cvt_i32_f32_e32 v61, v63
	v_cmp_ngt_f32_e32 vcc, s8, v1
	s_nop 1
	v_cndmask_b32_e32 v56, 0, v56, vcc
	v_cmp_nlt_f32_e32 vcc, s9, v1
	v_ldexp_f32 v1, v58, v61
	v_cvt_f32_f16_e32 v58, v59
	v_cndmask_b32_e32 v60, v51, v56, vcc
	v_cmp_ngt_f32_e32 vcc, s8, v55
	v_cvt_f32_f16_sdwa v59, v59 dst_sel:DWORD dst_unused:UNUSED_PAD src0_sel:WORD_1
	s_nop 0
	v_cndmask_b32_e32 v1, 0, v1, vcc
	v_cmp_nlt_f32_e32 vcc, s9, v55
	s_nop 1
	v_cndmask_b32_e32 v61, v51, v1, vcc
	v_pk_add_f32 v[60:61], v[60:61], 1.0 op_sel_hi:[1,0]
	s_nop 0
	v_frexp_mant_f32_e32 v1, v60
	v_rcp_f32_e32 v1, v1
	v_frexp_exp_i32_f32_e32 v55, v60
	v_sub_u32_e32 v55, 0, v55
	v_cvt_f32_f16_e32 v60, v57
	v_ldexp_f32 v56, v1, v55
	v_frexp_mant_f32_e32 v1, v61
	v_frexp_exp_i32_f32_e32 v55, v61
	v_cvt_f32_f16_sdwa v61, v57 dst_sel:DWORD dst_unused:UNUSED_PAD src0_sel:WORD_1
	v_rcp_f32_e32 v1, v1
	v_sub_u32_e32 v55, 0, v55
	v_pk_add_f32 v[48:49], v[48:49], v[60:61]
	s_nop 0
	v_pk_add_f32 v[48:49], v[48:49], v[58:59]
	s_nop 0
	v_mul_f32_e32 v57, 0x3d92220c, v48
	v_fma_f32 v57, -v48, v57, s10
	v_mul_f32_e32 v58, v48, v57
	v_mul_f32_e32 v57, 0x3fb8aa3b, v58
	v_fma_f32 v59, v58, s11, -v57
	v_rndne_f32_e32 v60, v57
	v_fmac_f32_e32 v59, 0x32a5705f, v58
	v_sub_f32_e32 v57, v57, v60
	v_add_f32_e32 v57, v57, v59
	v_exp_f32_e32 v59, v57
	v_ldexp_f32 v57, v1, v55
	v_pk_mul_f32 v[46:47], v[46:47], v[56:57]
	v_cvt_i32_f32_e32 v60, v60
	v_cvt_pk_f16_f32 v46, v46, v47
	v_mul_f32_e32 v47, 0x3d92220c, v49
	v_fma_f32 v47, -v49, v47, s10
	v_mul_f32_e32 v47, v49, v47
	v_mul_f32_e32 v55, 0x3fb8aa3b, v47
	v_fma_f32 v56, v47, s11, -v55
	v_rndne_f32_e32 v57, v55
	v_fmac_f32_e32 v56, 0x32a5705f, v47
	v_sub_f32_e32 v55, v55, v57
	v_add_f32_e32 v55, v55, v56
	v_exp_f32_e32 v55, v55
	v_cvt_i32_f32_e32 v57, v57
	v_ldexp_f32 v1, v59, v60
	v_cmp_ngt_f32_e32 vcc, s8, v58
	s_nop 1
	v_cndmask_b32_e32 v1, 0, v1, vcc
	v_cmp_nlt_f32_e32 vcc, s9, v58
	s_nop 1
	v_cndmask_b32_e32 v56, v51, v1, vcc
	v_ldexp_f32 v1, v55, v57
	v_cmp_ngt_f32_e32 vcc, s8, v47
	s_nop 1
	v_cndmask_b32_e32 v1, 0, v1, vcc
	v_cmp_nlt_f32_e32 vcc, s9, v47
	s_nop 1
	v_cndmask_b32_e32 v57, v51, v1, vcc
	v_pk_add_f32 v[56:57], v[56:57], 1.0 op_sel_hi:[1,0]
	s_nop 0
	v_frexp_mant_f32_e32 v1, v56
	v_rcp_f32_e32 v1, v1
	v_frexp_mant_f32_e32 v55, v57
	v_frexp_exp_i32_f32_e32 v47, v56
	v_rcp_f32_e32 v55, v55
	v_sub_u32_e32 v47, 0, v47
	v_ldexp_f32 v56, v1, v47
	v_frexp_exp_i32_f32_e32 v1, v57
	v_sub_u32_e32 v1, 0, v1
	v_ldexp_f32 v57, v55, v1
	v_pk_mul_f32 v[48:49], v[48:49], v[56:57]
	v_add_u32_e32 v1, 0xffffff80, v66
	v_cvt_pk_f16_f32 v47, v48, v49
	buffer_store_dwordx2 v[46:47], v1, s[0:3], 0 offen
	v_lshlrev_b32_e32 v1, 1, v50
	s_waitcnt lgkmcnt(0)
	s_barrier
	ds_write2_b32 v53, v42, v43 offset1:32
	ds_write2_b32 v53, v44, v45 offset0:64 offset1:96
	s_waitcnt lgkmcnt(0)
	s_barrier
	buffer_load_dwordx2 v[56:57], v1, s[12:15], 0 offen
	v_lshlrev_b32_e32 v1, 1, v52
	buffer_load_dwordx2 v[58:59], v1, s[4:7], 0 offen
	ds_read_b128 v[42:45], v54
	s_waitcnt vmcnt(1)
	v_cvt_f32_f16_e32 v46, v56
	v_cvt_f32_f16_sdwa v47, v56 dst_sel:DWORD dst_unused:UNUSED_PAD src0_sel:WORD_1
	s_waitcnt vmcnt(0)
	v_cvt_f32_f16_e32 v48, v58
	v_cvt_f32_f16_sdwa v49, v58 dst_sel:DWORD dst_unused:UNUSED_PAD src0_sel:WORD_1
	s_waitcnt lgkmcnt(0)
	v_pk_add_f32 v[42:43], v[42:43], v[46:47]
	s_nop 0
	v_pk_add_f32 v[42:43], v[42:43], v[48:49]
	s_nop 0
	v_mul_f32_e32 v1, 0x3d92220c, v42
	v_fma_f32 v1, -v42, v1, s10
	v_mul_f32_e32 v1, v42, v1
	v_mul_f32_e32 v46, 0x3fb8aa3b, v1
	v_fma_f32 v47, v1, s11, -v46
	v_rndne_f32_e32 v48, v46
	v_fmac_f32_e32 v47, 0x32a5705f, v1
	v_sub_f32_e32 v46, v46, v48
	v_add_f32_e32 v46, v46, v47
	v_exp_f32_e32 v55, v46
	v_cvt_i32_f32_e32 v56, v48
	v_cmp_ngt_f32_e32 vcc, s8, v1
	v_mfma_f32_16x16x32_f16 v[46:49], v[38:41], v[2:5], 0
	v_ldexp_f32 v55, v55, v56
	v_mul_f32_e32 v56, 0x3d92220c, v43
	v_fma_f32 v56, -v43, v56, s10
	v_mul_f32_e32 v56, v43, v56
	v_mul_f32_e32 v58, 0x3fb8aa3b, v56
	v_fma_f32 v60, v56, s11, -v58
	v_rndne_f32_e32 v61, v58
	v_fmac_f32_e32 v60, 0x32a5705f, v56
	v_sub_f32_e32 v58, v58, v61
	v_add_f32_e32 v58, v58, v60
	v_exp_f32_e32 v58, v58
	v_cvt_i32_f32_e32 v61, v61
	v_cndmask_b32_e32 v55, 0, v55, vcc
	v_cmp_nlt_f32_e32 vcc, s9, v1
	v_ldexp_f32 v1, v58, v61
	s_nop 0
	v_cndmask_b32_e32 v60, v51, v55, vcc
	v_cmp_ngt_f32_e32 vcc, s8, v56
	v_cvt_f32_f16_e32 v58, v59
	v_cvt_f32_f16_sdwa v59, v59 dst_sel:DWORD dst_unused:UNUSED_PAD src0_sel:WORD_1
	v_cndmask_b32_e32 v1, 0, v1, vcc
	v_cmp_nlt_f32_e32 vcc, s9, v56
	v_cvt_f32_f16_e32 v56, v57
	v_cvt_f32_f16_sdwa v57, v57 dst_sel:DWORD dst_unused:UNUSED_PAD src0_sel:WORD_1
	v_cndmask_b32_e32 v61, v51, v1, vcc
	v_pk_add_f32 v[60:61], v[60:61], 1.0 op_sel_hi:[1,0]
	v_add_u32_e32 v55, s16, v0
	v_frexp_mant_f32_e32 v1, v60
	v_rcp_f32_e32 v1, v1
	v_pk_add_f32 v[44:45], v[44:45], v[56:57]
	v_frexp_exp_i32_f32_e32 v0, v60
	v_pk_add_f32 v[44:45], v[44:45], v[58:59]
	v_sub_u32_e32 v0, 0, v0
	v_mul_f32_e32 v56, 0x3d92220c, v44
	v_ldexp_f32 v0, v1, v0
	v_frexp_mant_f32_e32 v1, v61
	v_fma_f32 v56, -v44, v56, s10
	v_rcp_f32_e32 v1, v1
	v_mul_f32_e32 v56, v44, v56
	v_mul_f32_e32 v57, 0x3fb8aa3b, v56
	v_frexp_exp_i32_f32_e32 v60, v61
	v_fma_f32 v58, v56, s11, -v57
	v_rndne_f32_e32 v59, v57
	v_sub_u32_e32 v60, 0, v60
	v_fmac_f32_e32 v58, 0x32a5705f, v56
	v_sub_f32_e32 v57, v57, v59
	v_add_f32_e32 v57, v57, v58
	v_ldexp_f32 v1, v1, v60
	v_exp_f32_e32 v57, v57
	v_cvt_i32_f32_e32 v58, v59
	v_pk_mul_f32 v[0:1], v[42:43], v[0:1]
	v_mul_f32_e32 v42, 0x3d92220c, v45
	v_fma_f32 v42, -v45, v42, s10
	v_mul_f32_e32 v43, v45, v42
	v_mul_f32_e32 v42, 0x3fb8aa3b, v43
	v_cvt_pk_f16_f32 v0, v0, v1
	v_ldexp_f32 v1, v57, v58
	v_fma_f32 v57, v43, s11, -v42
	v_rndne_f32_e32 v58, v42
	v_fmac_f32_e32 v57, 0x32a5705f, v43
	v_sub_f32_e32 v42, v42, v58
	v_add_f32_e32 v42, v42, v57
	v_exp_f32_e32 v57, v42
	v_cvt_i32_f32_e32 v58, v58
	v_cmp_ngt_f32_e32 vcc, s8, v56
	s_nop 1
	v_cndmask_b32_e32 v1, 0, v1, vcc
	v_cmp_nlt_f32_e32 vcc, s9, v56
	s_nop 1
	v_cndmask_b32_e32 v42, v51, v1, vcc
	v_ldexp_f32 v1, v57, v58
	v_cmp_ngt_f32_e32 vcc, s8, v43
	s_nop 1
	v_cndmask_b32_e32 v1, 0, v1, vcc
	v_cmp_nlt_f32_e32 vcc, s9, v43
	s_nop 1
	v_cndmask_b32_e32 v43, v51, v1, vcc
	v_pk_add_f32 v[42:43], v[42:43], 1.0 op_sel_hi:[1,0]
	s_nop 0
	v_frexp_mant_f32_e32 v1, v42
	v_rcp_f32_e32 v1, v1
	v_frexp_mant_f32_e32 v56, v43
	v_frexp_exp_i32_f32_e32 v42, v42
	v_rcp_f32_e32 v56, v56
	v_sub_u32_e32 v42, 0, v42
	v_ldexp_f32 v42, v1, v42
	v_frexp_exp_i32_f32_e32 v1, v43
	v_sub_u32_e32 v1, 0, v1
	v_ldexp_f32 v43, v56, v1
	v_pk_mul_f32 v[42:43], v[44:45], v[42:43]
	s_nop 0
	v_cvt_pk_f16_f32 v1, v42, v43
	v_lshlrev_b32_e32 v42, 1, v55
	buffer_store_dwordx2 v[0:1], v42, s[0:3], 0 offen
	v_add_u32_e32 v0, s18, v50
	v_add_u32_e32 v1, s17, v52
	v_lshlrev_b32_e32 v50, 1, v0
	s_waitcnt lgkmcnt(0)
	s_barrier
	ds_write2_b32 v53, v46, v47 offset1:32
	ds_write2_b32 v53, v48, v49 offset0:64 offset1:96
	s_waitcnt lgkmcnt(0)
	s_barrier
	buffer_load_dwordx2 v[56:57], v50, s[12:15], 0 offen
	v_lshlrev_b32_e32 v52, 1, v1
	buffer_load_dwordx2 v[58:59], v52, s[4:7], 0 offen
	ds_read_b128 v[42:45], v54
	s_waitcnt vmcnt(1)
	v_cvt_f32_f16_e32 v46, v56
	v_cvt_f32_f16_sdwa v47, v56 dst_sel:DWORD dst_unused:UNUSED_PAD src0_sel:WORD_1
	s_waitcnt vmcnt(0)
	v_cvt_f32_f16_e32 v48, v58
	v_cvt_f32_f16_sdwa v49, v58 dst_sel:DWORD dst_unused:UNUSED_PAD src0_sel:WORD_1
	s_waitcnt lgkmcnt(0)
	v_pk_add_f32 v[42:43], v[42:43], v[46:47]
	s_nop 0
	v_pk_add_f32 v[60:61], v[42:43], v[48:49]
	s_nop 0
	v_mul_f32_e32 v42, 0x3d92220c, v60
	v_fma_f32 v42, -v60, v42, s10
	v_mul_f32_e32 v42, v60, v42
	v_mul_f32_e32 v43, 0x3fb8aa3b, v42
	v_fma_f32 v46, v42, s11, -v43
	v_rndne_f32_e32 v47, v43
	v_fmac_f32_e32 v46, 0x32a5705f, v42
	v_sub_f32_e32 v43, v43, v47
	v_add_f32_e32 v43, v43, v46
	v_exp_f32_e32 v43, v43
	v_cvt_i32_f32_e32 v56, v47
	v_cmp_ngt_f32_e32 vcc, s8, v42
	v_mfma_f32_16x16x32_f16 v[46:49], v[38:41], v[10:13], 0
	v_ldexp_f32 v43, v43, v56
	v_mul_f32_e32 v56, 0x3d92220c, v61
	v_fma_f32 v56, -v61, v56, s10
	v_mul_f32_e32 v56, v61, v56
	v_mul_f32_e32 v58, 0x3fb8aa3b, v56
	v_fma_f32 v62, v56, s11, -v58
	v_rndne_f32_e32 v63, v58
	v_fmac_f32_e32 v62, 0x32a5705f, v56
	v_sub_f32_e32 v58, v58, v63
	v_add_f32_e32 v58, v58, v62
	v_exp_f32_e32 v58, v58
	v_cvt_i32_f32_e32 v62, v63
	v_cndmask_b32_e32 v43, 0, v43, vcc
	v_cmp_nlt_f32_e32 vcc, s9, v42
	s_nop 1
	v_cndmask_b32_e32 v42, v51, v43, vcc
	v_ldexp_f32 v43, v58, v62
	v_cmp_ngt_f32_e32 vcc, s8, v56
	v_cvt_f32_f16_e32 v58, v59
	v_cvt_f32_f16_sdwa v59, v59 dst_sel:DWORD dst_unused:UNUSED_PAD src0_sel:WORD_1
	v_cndmask_b32_e32 v43, 0, v43, vcc
	v_cmp_nlt_f32_e32 vcc, s9, v56
	s_nop 1
	v_cndmask_b32_e32 v43, v51, v43, vcc
	v_pk_add_f32 v[62:63], v[42:43], 1.0 op_sel_hi:[1,0]
	s_nop 0
	v_frexp_mant_f32_e32 v42, v62
	v_rcp_f32_e32 v43, v42
	v_add_u32_e32 v42, s16, v55
	v_frexp_exp_i32_f32_e32 v55, v62
	v_sub_u32_e32 v55, 0, v55
	v_ldexp_f32 v56, v43, v55
	v_frexp_mant_f32_e32 v43, v63
	v_frexp_exp_i32_f32_e32 v55, v63
	v_cvt_f32_f16_e32 v62, v57
	v_cvt_f32_f16_sdwa v63, v57 dst_sel:DWORD dst_unused:UNUSED_PAD src0_sel:WORD_1
	v_rcp_f32_e32 v43, v43
	v_sub_u32_e32 v55, 0, v55
	v_pk_add_f32 v[44:45], v[44:45], v[62:63]
	s_nop 0
	v_pk_add_f32 v[44:45], v[44:45], v[58:59]
	s_nop 0
	v_mul_f32_e32 v57, 0x3d92220c, v44
	v_fma_f32 v57, -v44, v57, s10
	v_mul_f32_e32 v58, v44, v57
	v_mul_f32_e32 v57, 0x3fb8aa3b, v58
	v_fma_f32 v59, v58, s11, -v57
	v_rndne_f32_e32 v62, v57
	v_fmac_f32_e32 v59, 0x32a5705f, v58
	v_sub_f32_e32 v57, v57, v62
	v_add_f32_e32 v57, v57, v59
	v_exp_f32_e32 v59, v57
	v_cvt_i32_f32_e32 v62, v62
	v_ldexp_f32 v57, v43, v55
	v_mul_f32_e32 v55, 0x3d92220c, v45
	v_fma_f32 v55, -v45, v55, s10
	v_pk_mul_f32 v[56:57], v[60:61], v[56:57]
	v_mul_f32_e32 v55, v45, v55
	v_cvt_pk_f16_f32 v56, v56, v57
	v_mul_f32_e32 v57, 0x3fb8aa3b, v55
	v_ldexp_f32 v43, v59, v62
	v_fma_f32 v59, v55, s11, -v57
	v_rndne_f32_e32 v60, v57
	v_fmac_f32_e32 v59, 0x32a5705f, v55
	v_sub_f32_e32 v57, v57, v60
	v_add_f32_e32 v57, v57, v59
	v_exp_f32_e32 v57, v57
	v_cvt_i32_f32_e32 v59, v60
	v_cmp_ngt_f32_e32 vcc, s8, v58
	s_nop 1
	v_cndmask_b32_e32 v43, 0, v43, vcc
	v_cmp_nlt_f32_e32 vcc, s9, v58
	s_nop 1
	v_cndmask_b32_e32 v58, v51, v43, vcc
	v_ldexp_f32 v43, v57, v59
	v_cmp_ngt_f32_e32 vcc, s8, v55
	s_nop 1
	v_cndmask_b32_e32 v43, 0, v43, vcc
	v_cmp_nlt_f32_e32 vcc, s9, v55
	s_nop 1
	v_cndmask_b32_e32 v59, v51, v43, vcc
	v_pk_add_f32 v[58:59], v[58:59], 1.0 op_sel_hi:[1,0]
	s_nop 0
	v_frexp_mant_f32_e32 v43, v58
	v_rcp_f32_e32 v43, v43
	v_frexp_mant_f32_e32 v57, v59
	v_frexp_exp_i32_f32_e32 v55, v58
	v_rcp_f32_e32 v57, v57
	v_sub_u32_e32 v55, 0, v55
	v_ldexp_f32 v58, v43, v55
	v_frexp_exp_i32_f32_e32 v43, v59
	v_sub_u32_e32 v43, 0, v43
	v_ldexp_f32 v59, v57, v43
	v_pk_mul_f32 v[44:45], v[44:45], v[58:59]
	v_lshlrev_b32_e32 v43, 1, v42
	v_cvt_pk_f16_f32 v57, v44, v45
	buffer_store_dwordx2 v[56:57], v43, s[0:3], 0 offen
	s_waitcnt lgkmcnt(0)
	s_barrier
	ds_write2_b32 v53, v46, v47 offset1:32
	ds_write2_b32 v53, v48, v49 offset0:64 offset1:96
	s_waitcnt lgkmcnt(0)
	s_barrier
	buffer_load_dwordx2 v[48:49], v50, s[12:15], 0 offen offset:64
	buffer_load_dwordx2 v[60:61], v52, s[4:7], 0 offen offset:64
	ds_read_b128 v[44:47], v54
	s_waitcnt vmcnt(1)
	v_cvt_f32_f16_e32 v56, v48
	v_cvt_f32_f16_sdwa v57, v48 dst_sel:DWORD dst_unused:UNUSED_PAD src0_sel:WORD_1
	s_waitcnt vmcnt(0)
	v_cvt_f32_f16_e32 v58, v60
	v_cvt_f32_f16_sdwa v59, v60 dst_sel:DWORD dst_unused:UNUSED_PAD src0_sel:WORD_1
	v_cvt_f32_f16_e32 v60, v61
	s_waitcnt lgkmcnt(0)
	v_pk_add_f32 v[44:45], v[44:45], v[56:57]
	v_cvt_f32_f16_sdwa v61, v61 dst_sel:DWORD dst_unused:UNUSED_PAD src0_sel:WORD_1
	v_pk_add_f32 v[44:45], v[44:45], v[58:59]
	s_nop 0
	v_mul_f32_e32 v48, 0x3d92220c, v44
	v_fma_f32 v48, -v44, v48, s10
	v_mul_f32_e32 v48, v44, v48
	v_mul_f32_e32 v55, 0x3fb8aa3b, v48
	v_fma_f32 v56, v48, s11, -v55
	v_rndne_f32_e32 v57, v55
	v_fmac_f32_e32 v56, 0x32a5705f, v48
	v_sub_f32_e32 v55, v55, v57
	v_add_f32_e32 v55, v55, v56
	v_exp_f32_e32 v55, v55
	v_cvt_i32_f32_e32 v56, v57
	v_cmp_ngt_f32_e32 vcc, s8, v48
	v_ldexp_f32 v55, v55, v56
	v_mul_f32_e32 v56, 0x3d92220c, v45
	v_fma_f32 v56, -v45, v56, s10
	v_mul_f32_e32 v57, v45, v56
	v_mul_f32_e32 v56, 0x3fb8aa3b, v57
	v_fma_f32 v58, v57, s11, -v56
	v_rndne_f32_e32 v59, v56
	v_fmac_f32_e32 v58, 0x32a5705f, v57
	v_sub_f32_e32 v56, v56, v59
	v_add_f32_e32 v56, v56, v58
	v_exp_f32_e32 v58, v56
	v_cvt_i32_f32_e32 v59, v59
	v_cndmask_b32_e32 v55, 0, v55, vcc
	v_cmp_nlt_f32_e32 vcc, s9, v48
	v_ldexp_f32 v48, v58, v59
	s_nop 0
	v_cndmask_b32_e32 v56, v51, v55, vcc
	v_cmp_ngt_f32_e32 vcc, s8, v57
	s_nop 1
	v_cndmask_b32_e32 v48, 0, v48, vcc
	v_cmp_nlt_f32_e32 vcc, s9, v57
	s_nop 1
	v_cndmask_b32_e32 v57, v51, v48, vcc
	v_pk_add_f32 v[62:63], v[56:57], 1.0 op_sel_hi:[1,0]
	v_mfma_f32_16x16x32_f16 v[56:59], v[38:41], v[14:17], 0
	v_frexp_mant_f32_e32 v48, v62
	v_rcp_f32_e32 v48, v48
	v_frexp_exp_i32_f32_e32 v55, v62
	v_sub_u32_e32 v55, 0, v55
	v_frexp_exp_i32_f32_e32 v64, v63
	v_ldexp_f32 v48, v48, v55
	v_frexp_mant_f32_e32 v55, v63
	v_cvt_f32_f16_e32 v62, v49
	v_cvt_f32_f16_sdwa v63, v49 dst_sel:DWORD dst_unused:UNUSED_PAD src0_sel:WORD_1
	v_rcp_f32_e32 v55, v55
	v_sub_u32_e32 v49, 0, v64
	v_mfma_f32_16x16x32_f16 v[38:41], v[38:41], v[18:21], 0
	v_add_f32_e64 v46, v46, v62
	v_add_f32_e64 v47, v47, v63
	v_ldexp_f32 v49, v55, v49
	v_pk_add_f32 v[46:47], v[46:47], v[60:61]
	v_pk_mul_f32 v[44:45], v[44:45], v[48:49]
	v_mul_f32_e32 v60, 0x3d92220c, v46
	v_fma_f32 v60, -v46, v60, s10
	v_mul_f32_e32 v60, v46, v60
	v_mul_f32_e32 v61, 0x3fb8aa3b, v60
	v_fma_f32 v62, v60, s11, -v61
	v_rndne_f32_e32 v63, v61
	v_fmac_f32_e32 v62, 0x32a5705f, v60
	v_sub_f32_e32 v61, v61, v63
	v_add_f32_e32 v61, v61, v62
	v_exp_f32_e32 v61, v61
	v_cvt_i32_f32_e32 v62, v63
	v_mul_f32_e32 v48, 0x3d92220c, v47
	v_fma_f32 v48, -v47, v48, s10
	v_mul_f32_e32 v49, v47, v48
	v_mul_f32_e32 v48, 0x3fb8aa3b, v49
	v_cvt_pk_f16_f32 v44, v44, v45
	v_ldexp_f32 v45, v61, v62
	v_fma_f32 v55, v49, s11, -v48
	v_rndne_f32_e32 v61, v48
	v_fmac_f32_e32 v55, 0x32a5705f, v49
	v_sub_f32_e32 v48, v48, v61
	v_add_f32_e32 v48, v48, v55
	v_exp_f32_e32 v55, v48
	v_cvt_i32_f32_e32 v61, v61
	v_cmp_ngt_f32_e32 vcc, s8, v60
	s_nop 1
	v_cndmask_b32_e32 v45, 0, v45, vcc
	v_cmp_nlt_f32_e32 vcc, s9, v60
	s_nop 1
	v_cndmask_b32_e32 v48, v51, v45, vcc
	v_ldexp_f32 v45, v55, v61
	v_cmp_ngt_f32_e32 vcc, s8, v49
	s_nop 1
	v_cndmask_b32_e32 v45, 0, v45, vcc
	v_cmp_nlt_f32_e32 vcc, s9, v49
	s_nop 1
	v_cndmask_b32_e32 v49, v51, v45, vcc
	v_pk_add_f32 v[48:49], v[48:49], 1.0 op_sel_hi:[1,0]
	s_nop 0
	v_frexp_mant_f32_e32 v45, v48
	v_rcp_f32_e32 v45, v45
	v_frexp_mant_f32_e32 v55, v49
	v_frexp_exp_i32_f32_e32 v48, v48
	v_rcp_f32_e32 v55, v55
	v_sub_u32_e32 v48, 0, v48
	v_ldexp_f32 v48, v45, v48
	v_frexp_exp_i32_f32_e32 v45, v49
	v_sub_u32_e32 v45, 0, v45
	v_ldexp_f32 v49, v55, v45
	v_pk_mul_f32 v[46:47], v[46:47], v[48:49]
	s_nop 0
	v_cvt_pk_f16_f32 v45, v46, v47
	buffer_store_dwordx2 v[44:45], v43, s[0:3], 0 offen offset:64
	s_waitcnt lgkmcnt(0)
	s_barrier
	ds_write2_b32 v53, v56, v57 offset1:32
	ds_write2_b32 v53, v58, v59 offset0:64 offset1:96
	s_waitcnt lgkmcnt(0)
	s_barrier
	buffer_load_dwordx2 v[48:49], v50, s[12:15], 0 offen offset:128
	buffer_load_dwordx2 v[56:57], v52, s[4:7], 0 offen offset:128
	ds_read_b128 v[44:47], v54
	s_waitcnt vmcnt(1)
	v_cvt_f32_f16_e32 v58, v48
	v_cvt_f32_f16_sdwa v59, v48 dst_sel:DWORD dst_unused:UNUSED_PAD src0_sel:WORD_1
	s_waitcnt vmcnt(0)
	v_cvt_f32_f16_e32 v60, v56
	v_cvt_f32_f16_sdwa v61, v56 dst_sel:DWORD dst_unused:UNUSED_PAD src0_sel:WORD_1
	s_waitcnt lgkmcnt(0)
	v_pk_add_f32 v[44:45], v[44:45], v[58:59]
	s_nop 0
	v_pk_add_f32 v[44:45], v[44:45], v[60:61]
	s_nop 0
	v_mul_f32_e32 v48, 0x3d92220c, v44
	v_fma_f32 v48, -v44, v48, s10
	v_mul_f32_e32 v48, v44, v48
	v_mul_f32_e32 v50, 0x3fb8aa3b, v48
	v_fma_f32 v52, v48, s11, -v50
	v_rndne_f32_e32 v55, v50
	v_fmac_f32_e32 v52, 0x32a5705f, v48
	v_sub_f32_e32 v50, v50, v55
	v_add_f32_e32 v50, v50, v52
	v_exp_f32_e32 v50, v50
	v_cvt_i32_f32_e32 v52, v55
	v_cmp_ngt_f32_e32 vcc, s8, v48
	v_ldexp_f32 v50, v50, v52
	v_mul_f32_e32 v52, 0x3d92220c, v45
	v_fma_f32 v52, -v45, v52, s10
	v_mul_f32_e32 v52, v45, v52
	v_mul_f32_e32 v55, 0x3fb8aa3b, v52
	v_fma_f32 v56, v52, s11, -v55
	v_rndne_f32_e32 v58, v55
	v_fmac_f32_e32 v56, 0x32a5705f, v52
	v_sub_f32_e32 v55, v55, v58
	v_add_f32_e32 v55, v55, v56
	v_exp_f32_e32 v55, v55
	v_cvt_i32_f32_e32 v56, v58
	v_cndmask_b32_e32 v50, 0, v50, vcc
	v_cmp_nlt_f32_e32 vcc, s9, v48
	v_ldexp_f32 v48, v55, v56
	s_nop 0
	v_cndmask_b32_e32 v58, v51, v50, vcc
	v_cmp_ngt_f32_e32 vcc, s8, v52
	v_cvt_f32_f16_e32 v56, v57
	v_cvt_f32_f16_sdwa v57, v57 dst_sel:DWORD dst_unused:UNUSED_PAD src0_sel:WORD_1
	v_cndmask_b32_e32 v48, 0, v48, vcc
	v_cmp_nlt_f32_e32 vcc, s9, v52
	s_nop 1
	v_cndmask_b32_e32 v59, v51, v48, vcc
	v_pk_add_f32 v[58:59], v[58:59], 1.0 op_sel_hi:[1,0]
	s_nop 0
	v_frexp_mant_f32_e32 v48, v58
	v_rcp_f32_e32 v48, v48
	v_frexp_exp_i32_f32_e32 v50, v58
	v_sub_u32_e32 v50, 0, v50
	v_frexp_exp_i32_f32_e32 v52, v59
	v_ldexp_f32 v48, v48, v50
	v_frexp_mant_f32_e32 v50, v59
	v_cvt_f32_f16_e32 v58, v49
	v_cvt_f32_f16_sdwa v59, v49 dst_sel:DWORD dst_unused:UNUSED_PAD src0_sel:WORD_1
	v_sub_u32_e32 v49, 0, v52
	v_rcp_f32_e32 v50, v50
	v_pk_add_f32 v[46:47], v[46:47], v[58:59]
	s_nop 0
	v_pk_add_f32 v[46:47], v[46:47], v[56:57]
	v_ldexp_f32 v49, v50, v49
	v_mul_f32_e32 v52, 0x3d92220c, v46
	v_fma_f32 v52, -v46, v52, s10
	v_mul_f32_e32 v52, v46, v52
	v_mul_f32_e32 v55, 0x3fb8aa3b, v52
	v_fma_f32 v56, v52, s11, -v55
	v_rndne_f32_e32 v57, v55
	v_fmac_f32_e32 v56, 0x32a5705f, v52
	v_sub_f32_e32 v55, v55, v57
	v_add_f32_e32 v55, v55, v56
	v_exp_f32_e32 v55, v55
	v_cvt_i32_f32_e32 v56, v57
	v_pk_mul_f32 v[44:45], v[44:45], v[48:49]
	v_mul_f32_e32 v48, 0x3d92220c, v47
	v_fma_f32 v48, -v47, v48, s10
	v_mul_f32_e32 v49, v47, v48
	v_mul_f32_e32 v48, 0x3fb8aa3b, v49
	v_cvt_pk_f16_f32 v44, v44, v45
	v_ldexp_f32 v45, v55, v56
	v_fma_f32 v50, v49, s11, -v48
	v_rndne_f32_e32 v55, v48
	v_fmac_f32_e32 v50, 0x32a5705f, v49
	v_sub_f32_e32 v48, v48, v55
	v_add_f32_e32 v48, v48, v50
	v_exp_f32_e32 v50, v48
	v_cvt_i32_f32_e32 v55, v55
	v_cmp_ngt_f32_e32 vcc, s8, v52
	s_nop 1
	v_cndmask_b32_e32 v45, 0, v45, vcc
	v_cmp_nlt_f32_e32 vcc, s9, v52
	s_nop 1
	v_cndmask_b32_e32 v48, v51, v45, vcc
	v_ldexp_f32 v45, v50, v55
	v_cmp_ngt_f32_e32 vcc, s8, v49
	s_nop 1
	v_cndmask_b32_e32 v45, 0, v45, vcc
	v_cmp_nlt_f32_e32 vcc, s9, v49
	s_nop 1
	v_cndmask_b32_e32 v49, v51, v45, vcc
	v_pk_add_f32 v[48:49], v[48:49], 1.0 op_sel_hi:[1,0]
	s_nop 0
	v_frexp_mant_f32_e32 v45, v48
	v_rcp_f32_e32 v45, v45
	v_frexp_mant_f32_e32 v50, v49
	v_frexp_exp_i32_f32_e32 v48, v48
	v_rcp_f32_e32 v50, v50
	v_sub_u32_e32 v48, 0, v48
	v_ldexp_f32 v48, v45, v48
	v_frexp_exp_i32_f32_e32 v45, v49
	v_sub_u32_e32 v45, 0, v45
	v_ldexp_f32 v49, v50, v45
	v_pk_mul_f32 v[46:47], v[46:47], v[48:49]
	v_add_u32_e32 v50, 0x60, v1
	v_cvt_pk_f16_f32 v45, v46, v47
	buffer_store_dwordx2 v[44:45], v43, s[0:3], 0 offen offset:128
	v_add_u32_e32 v43, 0x60, v0
	s_waitcnt lgkmcnt(0)
	s_barrier
	ds_write2_b32 v53, v38, v39 offset1:32
	ds_write2_b32 v53, v40, v41 offset0:64 offset1:96
	v_lshlrev_b32_e32 v38, 1, v43
	s_waitcnt lgkmcnt(0)
	s_barrier
	buffer_load_dwordx2 v[48:49], v38, s[12:15], 0 offen
	v_lshlrev_b32_e32 v38, 1, v50
	buffer_load_dwordx2 v[56:57], v38, s[4:7], 0 offen
	ds_read_b128 v[38:41], v54
	v_add_lshl_u32 v43, v43, s18, 1
	v_add_lshl_u32 v50, v50, s17, 1
	s_waitcnt vmcnt(1)
	v_cvt_f32_f16_e32 v44, v48
	v_cvt_f32_f16_sdwa v45, v48 dst_sel:DWORD dst_unused:UNUSED_PAD src0_sel:WORD_1
	s_waitcnt vmcnt(0)
	v_cvt_f32_f16_e32 v46, v56
	v_cvt_f32_f16_sdwa v47, v56 dst_sel:DWORD dst_unused:UNUSED_PAD src0_sel:WORD_1
	s_waitcnt lgkmcnt(0)
	v_pk_add_f32 v[38:39], v[38:39], v[44:45]
	s_nop 0
	v_pk_add_f32 v[38:39], v[38:39], v[46:47]
	s_nop 0
	v_mul_f32_e32 v44, 0x3d92220c, v38
	v_fma_f32 v44, -v38, v44, s10
	v_mul_f32_e32 v48, v38, v44
	v_mul_f32_e32 v44, 0x3fb8aa3b, v48
	v_fma_f32 v45, v48, s11, -v44
	v_rndne_f32_e32 v46, v44
	v_fmac_f32_e32 v45, 0x32a5705f, v48
	v_sub_f32_e32 v44, v44, v46
	v_add_f32_e32 v44, v44, v45
	v_exp_f32_e32 v52, v44
	v_cvt_i32_f32_e32 v55, v46
	v_cmp_ngt_f32_e32 vcc, s8, v48
	v_mfma_f32_16x16x32_f16 v[44:47], v[34:37], v[18:21], 0
	v_ldexp_f32 v52, v52, v55
	v_mul_f32_e32 v55, 0x3d92220c, v39
	v_fma_f32 v55, -v39, v55, s10
	v_mul_f32_e32 v55, v39, v55
	v_mul_f32_e32 v56, 0x3fb8aa3b, v55
	v_fma_f32 v58, v55, s11, -v56
	v_rndne_f32_e32 v59, v56
	v_fmac_f32_e32 v58, 0x32a5705f, v55
	v_sub_f32_e32 v56, v56, v59
	v_add_f32_e32 v56, v56, v58
	v_exp_f32_e32 v56, v56
	v_cvt_i32_f32_e32 v59, v59
	v_cndmask_b32_e32 v52, 0, v52, vcc
	v_cmp_nlt_f32_e32 vcc, s9, v48
	v_ldexp_f32 v48, v56, v59
	s_nop 0
	v_cndmask_b32_e32 v58, v51, v52, vcc
	v_cmp_ngt_f32_e32 vcc, s8, v55
	v_cvt_f32_f16_e32 v56, v57
	v_cvt_f32_f16_sdwa v57, v57 dst_sel:DWORD dst_unused:UNUSED_PAD src0_sel:WORD_1
	v_cndmask_b32_e32 v48, 0, v48, vcc
	v_cmp_nlt_f32_e32 vcc, s9, v55
	v_add_u32_e32 v52, 0x60, v42
	s_nop 0
	v_cndmask_b32_e32 v59, v51, v48, vcc
	v_pk_add_f32 v[58:59], v[58:59], 1.0 op_sel_hi:[1,0]
	s_nop 0
	v_frexp_mant_f32_e32 v48, v58
	v_rcp_f32_e32 v48, v48
	v_frexp_exp_i32_f32_e32 v55, v58
	v_sub_u32_e32 v55, 0, v55
	v_frexp_exp_i32_f32_e32 v60, v59
	v_ldexp_f32 v48, v48, v55
	v_frexp_mant_f32_e32 v55, v59
	v_cvt_f32_f16_e32 v58, v49
	v_cvt_f32_f16_sdwa v59, v49 dst_sel:DWORD dst_unused:UNUSED_PAD src0_sel:WORD_1
	v_rcp_f32_e32 v55, v55
	v_sub_u32_e32 v49, 0, v60
	v_pk_add_f32 v[40:41], v[40:41], v[58:59]
	s_nop 0
	v_pk_add_f32 v[40:41], v[40:41], v[56:57]
	v_ldexp_f32 v49, v55, v49
	v_mul_f32_e32 v56, 0x3d92220c, v40
	v_fma_f32 v56, -v40, v56, s10
	v_mul_f32_e32 v56, v40, v56
	v_mul_f32_e32 v57, 0x3fb8aa3b, v56
	v_fma_f32 v58, v56, s11, -v57
	v_rndne_f32_e32 v59, v57
	v_fmac_f32_e32 v58, 0x32a5705f, v56
	v_sub_f32_e32 v57, v57, v59
	v_add_f32_e32 v57, v57, v58
	v_exp_f32_e32 v57, v57
	v_cvt_i32_f32_e32 v58, v59
	v_pk_mul_f32 v[38:39], v[38:39], v[48:49]
	v_mul_f32_e32 v48, 0x3d92220c, v41
	v_fma_f32 v48, -v41, v48, s10
	v_mul_f32_e32 v49, v41, v48
	v_mul_f32_e32 v48, 0x3fb8aa3b, v49
	v_cvt_pk_f16_f32 v38, v38, v39
	v_ldexp_f32 v39, v57, v58
	v_fma_f32 v55, v49, s11, -v48
	v_rndne_f32_e32 v57, v48
	v_fmac_f32_e32 v55, 0x32a5705f, v49
	v_sub_f32_e32 v48, v48, v57
	v_add_f32_e32 v48, v48, v55
	v_exp_f32_e32 v55, v48
	v_cvt_i32_f32_e32 v57, v57
	v_cmp_ngt_f32_e32 vcc, s8, v56
	s_nop 1
	v_cndmask_b32_e32 v39, 0, v39, vcc
	v_cmp_nlt_f32_e32 vcc, s9, v56
	s_nop 1
	v_cndmask_b32_e32 v48, v51, v39, vcc
	v_ldexp_f32 v39, v55, v57
	v_cmp_ngt_f32_e32 vcc, s8, v49
	s_nop 1
	v_cndmask_b32_e32 v39, 0, v39, vcc
	v_cmp_nlt_f32_e32 vcc, s9, v49
	s_nop 1
	v_cndmask_b32_e32 v49, v51, v39, vcc
	v_pk_add_f32 v[48:49], v[48:49], 1.0 op_sel_hi:[1,0]
	s_nop 0
	v_frexp_mant_f32_e32 v39, v48
	v_rcp_f32_e32 v39, v39
	v_frexp_mant_f32_e32 v55, v49
	v_frexp_exp_i32_f32_e32 v48, v48
	v_rcp_f32_e32 v55, v55
	v_sub_u32_e32 v48, 0, v48
	v_ldexp_f32 v48, v39, v48
	v_frexp_exp_i32_f32_e32 v39, v49
	v_sub_u32_e32 v39, 0, v39
	v_ldexp_f32 v49, v55, v39
	v_pk_mul_f32 v[40:41], v[40:41], v[48:49]
	s_nop 0
	v_cvt_pk_f16_f32 v39, v40, v41
	v_lshlrev_b32_e32 v40, 1, v52
	buffer_store_dwordx2 v[38:39], v40, s[0:3], 0 offen
	s_waitcnt lgkmcnt(0)
	s_barrier
	ds_write2_b32 v53, v44, v45 offset1:32
	ds_write2_b32 v53, v46, v47 offset0:64 offset1:96
	s_waitcnt lgkmcnt(0)
	s_barrier
	buffer_load_dwordx2 v[48:49], v43, s[12:15], 0 offen
	buffer_load_dwordx2 v[56:57], v50, s[4:7], 0 offen
	ds_read_b128 v[38:41], v54
	v_add_lshl_u32 v52, v52, s16, 1
	s_waitcnt vmcnt(1)
	v_cvt_f32_f16_e32 v44, v48
	v_cvt_f32_f16_sdwa v45, v48 dst_sel:DWORD dst_unused:UNUSED_PAD src0_sel:WORD_1
	s_waitcnt vmcnt(0)
	v_cvt_f32_f16_e32 v46, v56
	v_cvt_f32_f16_sdwa v47, v56 dst_sel:DWORD dst_unused:UNUSED_PAD src0_sel:WORD_1
	v_cvt_f32_f16_e32 v56, v57
	s_waitcnt lgkmcnt(0)
	v_pk_add_f32 v[38:39], v[38:39], v[44:45]
	v_cvt_f32_f16_sdwa v57, v57 dst_sel:DWORD dst_unused:UNUSED_PAD src0_sel:WORD_1
	v_pk_add_f32 v[38:39], v[38:39], v[46:47]
	s_nop 0
	v_mul_f32_e32 v44, 0x3d92220c, v38
	v_fma_f32 v44, -v38, v44, s10
	v_mul_f32_e32 v44, v38, v44
	v_mul_f32_e32 v45, 0x3fb8aa3b, v44
	v_fma_f32 v46, v44, s11, -v45
	v_rndne_f32_e32 v47, v45
	v_fmac_f32_e32 v46, 0x32a5705f, v44
	v_sub_f32_e32 v45, v45, v47
	v_add_f32_e32 v45, v45, v46
	v_exp_f32_e32 v45, v45
	v_cvt_i32_f32_e32 v46, v47
	v_cmp_ngt_f32_e32 vcc, s8, v44
	v_ldexp_f32 v45, v45, v46
	v_mul_f32_e32 v46, 0x3d92220c, v39
	v_fma_f32 v46, -v39, v46, s10
	v_mul_f32_e32 v46, v39, v46
	v_mul_f32_e32 v47, 0x3fb8aa3b, v46
	v_fma_f32 v48, v46, s11, -v47
	v_rndne_f32_e32 v55, v47
	v_fmac_f32_e32 v48, 0x32a5705f, v46
	v_sub_f32_e32 v47, v47, v55
	v_add_f32_e32 v47, v47, v48
	v_exp_f32_e32 v47, v47
	v_cvt_i32_f32_e32 v48, v55
	v_cndmask_b32_e32 v45, 0, v45, vcc
	v_cmp_nlt_f32_e32 vcc, s9, v44
	s_nop 1
	v_cndmask_b32_e32 v44, v51, v45, vcc
	v_ldexp_f32 v45, v47, v48
	v_cmp_ngt_f32_e32 vcc, s8, v46
	s_nop 1
	v_cndmask_b32_e32 v45, 0, v45, vcc
	v_cmp_nlt_f32_e32 vcc, s9, v46
	s_nop 1
	v_cndmask_b32_e32 v45, v51, v45, vcc
	v_pk_add_f32 v[58:59], v[44:45], 1.0 op_sel_hi:[1,0]
	s_nop 0
	v_frexp_mant_f32_e32 v44, v58
	v_rcp_f32_e32 v48, v44
	v_frexp_exp_i32_f32_e32 v55, v58
	v_sub_u32_e32 v55, 0, v55
	v_frexp_exp_i32_f32_e32 v60, v59
	v_ldexp_f32 v48, v48, v55
	v_frexp_mant_f32_e32 v55, v59
	v_cvt_f32_f16_e32 v58, v49
	v_cvt_f32_f16_sdwa v59, v49 dst_sel:DWORD dst_unused:UNUSED_PAD src0_sel:WORD_1
	v_rcp_f32_e32 v55, v55
	v_sub_u32_e32 v49, 0, v60
	v_mfma_f32_16x16x32_f16 v[44:47], v[34:37], v[14:17], 0
	v_add_f32_e64 v40, v40, v58
	v_add_f32_e64 v41, v41, v59
	v_ldexp_f32 v49, v55, v49
	v_pk_add_f32 v[40:41], v[40:41], v[56:57]
	v_pk_mul_f32 v[38:39], v[38:39], v[48:49]
	v_mul_f32_e32 v56, 0x3d92220c, v40
	v_fma_f32 v56, -v40, v56, s10
	v_mul_f32_e32 v56, v40, v56
	v_mul_f32_e32 v57, 0x3fb8aa3b, v56
	v_fma_f32 v58, v56, s11, -v57
	v_rndne_f32_e32 v59, v57
	v_fmac_f32_e32 v58, 0x32a5705f, v56
	v_sub_f32_e32 v57, v57, v59
	v_add_f32_e32 v57, v57, v58
	v_exp_f32_e32 v57, v57
	v_cvt_i32_f32_e32 v58, v59
	v_mul_f32_e32 v48, 0x3d92220c, v41
	v_fma_f32 v48, -v41, v48, s10
	v_mul_f32_e32 v49, v41, v48
	v_mul_f32_e32 v48, 0x3fb8aa3b, v49
	v_cvt_pk_f16_f32 v38, v38, v39
	v_ldexp_f32 v39, v57, v58
	v_fma_f32 v55, v49, s11, -v48
	v_rndne_f32_e32 v57, v48
	v_fmac_f32_e32 v55, 0x32a5705f, v49
	v_sub_f32_e32 v48, v48, v57
	v_add_f32_e32 v48, v48, v55
	v_exp_f32_e32 v55, v48
	v_cvt_i32_f32_e32 v57, v57
	v_cmp_ngt_f32_e32 vcc, s8, v56
	s_nop 1
	v_cndmask_b32_e32 v39, 0, v39, vcc
	v_cmp_nlt_f32_e32 vcc, s9, v56
	s_nop 1
	v_cndmask_b32_e32 v48, v51, v39, vcc
	v_ldexp_f32 v39, v55, v57
	v_cmp_ngt_f32_e32 vcc, s8, v49
	s_nop 1
	v_cndmask_b32_e32 v39, 0, v39, vcc
	v_cmp_nlt_f32_e32 vcc, s9, v49
	s_nop 1
	v_cndmask_b32_e32 v49, v51, v39, vcc
	v_pk_add_f32 v[48:49], v[48:49], 1.0 op_sel_hi:[1,0]
	s_nop 0
	v_frexp_mant_f32_e32 v39, v48
	v_rcp_f32_e32 v39, v39
	v_frexp_mant_f32_e32 v55, v49
	v_frexp_exp_i32_f32_e32 v48, v48
	v_rcp_f32_e32 v55, v55
	v_sub_u32_e32 v48, 0, v48
	v_ldexp_f32 v48, v39, v48
	v_frexp_exp_i32_f32_e32 v39, v49
	v_sub_u32_e32 v39, 0, v39
	v_ldexp_f32 v49, v55, v39
	v_pk_mul_f32 v[40:41], v[40:41], v[48:49]
	s_nop 0
	v_cvt_pk_f16_f32 v39, v40, v41
	buffer_store_dwordx2 v[38:39], v52, s[0:3], 0 offen
	v_subrev_u32_e32 v38, 64, v43
	s_waitcnt lgkmcnt(0)
	s_barrier
	ds_write2_b32 v53, v44, v45 offset1:32
	ds_write2_b32 v53, v46, v47 offset0:64 offset1:96
	s_waitcnt lgkmcnt(0)
	s_barrier
	buffer_load_dwordx2 v[48:49], v38, s[12:15], 0 offen
	v_subrev_u32_e32 v38, 64, v50
	buffer_load_dwordx2 v[56:57], v38, s[4:7], 0 offen
	ds_read_b128 v[38:41], v54
	s_waitcnt vmcnt(1)
	v_cvt_f32_f16_e32 v44, v48
	v_cvt_f32_f16_sdwa v45, v48 dst_sel:DWORD dst_unused:UNUSED_PAD src0_sel:WORD_1
	s_waitcnt vmcnt(0)
	v_cvt_f32_f16_e32 v46, v56
	v_cvt_f32_f16_sdwa v47, v56 dst_sel:DWORD dst_unused:UNUSED_PAD src0_sel:WORD_1
	v_cvt_f32_f16_e32 v56, v57
	s_waitcnt lgkmcnt(0)
	v_pk_add_f32 v[38:39], v[38:39], v[44:45]
	v_cvt_f32_f16_sdwa v57, v57 dst_sel:DWORD dst_unused:UNUSED_PAD src0_sel:WORD_1
	v_pk_add_f32 v[38:39], v[38:39], v[46:47]
	s_nop 0
	v_mul_f32_e32 v44, 0x3d92220c, v38
	v_fma_f32 v44, -v38, v44, s10
	v_mul_f32_e32 v44, v38, v44
	v_mul_f32_e32 v45, 0x3fb8aa3b, v44
	v_fma_f32 v46, v44, s11, -v45
	v_rndne_f32_e32 v47, v45
	v_fmac_f32_e32 v46, 0x32a5705f, v44
	v_sub_f32_e32 v45, v45, v47
	v_add_f32_e32 v45, v45, v46
	v_exp_f32_e32 v45, v45
	v_cvt_i32_f32_e32 v46, v47
	v_cmp_ngt_f32_e32 vcc, s8, v44
	v_ldexp_f32 v45, v45, v46
	v_mul_f32_e32 v46, 0x3d92220c, v39
	v_fma_f32 v46, -v39, v46, s10
	v_mul_f32_e32 v46, v39, v46
	v_mul_f32_e32 v47, 0x3fb8aa3b, v46
	v_fma_f32 v48, v46, s11, -v47
	v_rndne_f32_e32 v55, v47
	v_fmac_f32_e32 v48, 0x32a5705f, v46
	v_sub_f32_e32 v47, v47, v55
	v_add_f32_e32 v47, v47, v48
	v_exp_f32_e32 v47, v47
	v_cvt_i32_f32_e32 v48, v55
	v_cndmask_b32_e32 v45, 0, v45, vcc
	v_cmp_nlt_f32_e32 vcc, s9, v44
	s_nop 1
	v_cndmask_b32_e32 v44, v51, v45, vcc
	v_ldexp_f32 v45, v47, v48
	v_cmp_ngt_f32_e32 vcc, s8, v46
	s_nop 1
	v_cndmask_b32_e32 v45, 0, v45, vcc
	v_cmp_nlt_f32_e32 vcc, s9, v46
	s_nop 1
	v_cndmask_b32_e32 v45, v51, v45, vcc
	v_pk_add_f32 v[58:59], v[44:45], 1.0 op_sel_hi:[1,0]
	s_nop 0
	v_frexp_mant_f32_e32 v44, v58
	v_rcp_f32_e32 v48, v44
	v_frexp_exp_i32_f32_e32 v55, v58
	v_sub_u32_e32 v55, 0, v55
	v_frexp_exp_i32_f32_e32 v60, v59
	v_ldexp_f32 v48, v48, v55
	v_frexp_mant_f32_e32 v55, v59
	v_cvt_f32_f16_e32 v58, v49
	v_cvt_f32_f16_sdwa v59, v49 dst_sel:DWORD dst_unused:UNUSED_PAD src0_sel:WORD_1
	v_rcp_f32_e32 v55, v55
	v_sub_u32_e32 v49, 0, v60
	v_mfma_f32_16x16x32_f16 v[44:47], v[34:37], v[10:13], 0
	v_add_f32_e64 v40, v40, v58
	v_add_f32_e64 v41, v41, v59
	v_ldexp_f32 v49, v55, v49
	v_pk_add_f32 v[40:41], v[40:41], v[56:57]
	v_pk_mul_f32 v[38:39], v[38:39], v[48:49]
	v_mul_f32_e32 v56, 0x3d92220c, v40
	v_fma_f32 v56, -v40, v56, s10
	v_mul_f32_e32 v56, v40, v56
	v_mul_f32_e32 v57, 0x3fb8aa3b, v56
	v_fma_f32 v58, v56, s11, -v57
	v_rndne_f32_e32 v59, v57
	v_fmac_f32_e32 v58, 0x32a5705f, v56
	v_sub_f32_e32 v57, v57, v59
	v_add_f32_e32 v57, v57, v58
	v_exp_f32_e32 v57, v57
	v_cvt_i32_f32_e32 v58, v59
	v_mul_f32_e32 v48, 0x3d92220c, v41
	v_fma_f32 v48, -v41, v48, s10
	v_mul_f32_e32 v49, v41, v48
	v_mul_f32_e32 v48, 0x3fb8aa3b, v49
	v_cvt_pk_f16_f32 v38, v38, v39
	v_ldexp_f32 v39, v57, v58
	v_fma_f32 v55, v49, s11, -v48
	v_rndne_f32_e32 v57, v48
	v_fmac_f32_e32 v55, 0x32a5705f, v49
	v_sub_f32_e32 v48, v48, v57
	v_add_f32_e32 v48, v48, v55
	v_exp_f32_e32 v55, v48
	v_cvt_i32_f32_e32 v57, v57
	v_cmp_ngt_f32_e32 vcc, s8, v56
	v_mfma_f32_16x16x32_f16 v[34:37], v[34:37], v[2:5], 0
	s_nop 0
	v_cndmask_b32_e32 v39, 0, v39, vcc
	v_cmp_nlt_f32_e32 vcc, s9, v56
	s_nop 1
	v_cndmask_b32_e32 v48, v51, v39, vcc
	v_ldexp_f32 v39, v55, v57
	v_cmp_ngt_f32_e32 vcc, s8, v49
	s_nop 1
	v_cndmask_b32_e32 v39, 0, v39, vcc
	v_cmp_nlt_f32_e32 vcc, s9, v49
	s_nop 1
	v_cndmask_b32_e32 v49, v51, v39, vcc
	v_pk_add_f32 v[48:49], v[48:49], 1.0 op_sel_hi:[1,0]
	s_nop 0
	v_frexp_mant_f32_e32 v39, v48
	v_rcp_f32_e32 v39, v39
	v_frexp_mant_f32_e32 v55, v49
	v_frexp_exp_i32_f32_e32 v48, v48
	v_rcp_f32_e32 v55, v55
	v_sub_u32_e32 v48, 0, v48
	v_ldexp_f32 v48, v39, v48
	v_frexp_exp_i32_f32_e32 v39, v49
	v_sub_u32_e32 v39, 0, v39
	v_ldexp_f32 v49, v55, v39
	v_pk_mul_f32 v[40:41], v[40:41], v[48:49]
	s_nop 0
	v_cvt_pk_f16_f32 v39, v40, v41
	v_subrev_u32_e32 v40, 64, v52
	buffer_store_dwordx2 v[38:39], v40, s[0:3], 0 offen
	v_add_u32_e32 v38, 0xffffff80, v43
	s_waitcnt lgkmcnt(0)
	s_barrier
	ds_write2_b32 v53, v44, v45 offset1:32
	ds_write2_b32 v53, v46, v47 offset0:64 offset1:96
	s_waitcnt lgkmcnt(0)
	s_barrier
	buffer_load_dwordx2 v[44:45], v38, s[12:15], 0 offen
	v_add_u32_e32 v38, 0xffffff80, v50
	buffer_load_dwordx2 v[46:47], v38, s[4:7], 0 offen
	ds_read_b128 v[38:41], v54
	s_waitcnt vmcnt(1)
	v_cvt_f32_f16_e32 v48, v44
	v_cvt_f32_f16_sdwa v49, v44 dst_sel:DWORD dst_unused:UNUSED_PAD src0_sel:WORD_1
	s_waitcnt vmcnt(0)
	v_cvt_f32_f16_e32 v56, v46
	v_cvt_f32_f16_sdwa v57, v46 dst_sel:DWORD dst_unused:UNUSED_PAD src0_sel:WORD_1
	s_waitcnt lgkmcnt(0)
	v_pk_add_f32 v[38:39], v[38:39], v[48:49]
	s_nop 0
	v_pk_add_f32 v[38:39], v[38:39], v[56:57]
	s_nop 0
	v_mul_f32_e32 v43, 0x3d92220c, v38
	v_fma_f32 v43, -v38, v43, s10
	v_mul_f32_e32 v43, v38, v43
	v_mul_f32_e32 v44, 0x3fb8aa3b, v43
	v_fma_f32 v46, v43, s11, -v44
	v_rndne_f32_e32 v48, v44
	v_fmac_f32_e32 v46, 0x32a5705f, v43
	v_sub_f32_e32 v44, v44, v48
	v_add_f32_e32 v44, v44, v46
	v_exp_f32_e32 v44, v44
	v_cvt_i32_f32_e32 v46, v48
	v_cmp_ngt_f32_e32 vcc, s8, v43
	v_ldexp_f32 v44, v44, v46
	v_mul_f32_e32 v46, 0x3d92220c, v39
	v_fma_f32 v46, -v39, v46, s10
	v_mul_f32_e32 v46, v39, v46
	v_mul_f32_e32 v48, 0x3fb8aa3b, v46
	v_fma_f32 v49, v46, s11, -v48
	v_rndne_f32_e32 v50, v48
	v_fmac_f32_e32 v49, 0x32a5705f, v46
	v_sub_f32_e32 v48, v48, v50
	v_add_f32_e32 v48, v48, v49
	v_exp_f32_e32 v49, v48
	v_cvt_i32_f32_e32 v50, v50
	v_cndmask_b32_e32 v44, 0, v44, vcc
	v_cmp_nlt_f32_e32 vcc, s9, v43
	v_ldexp_f32 v43, v49, v50
	s_nop 0
	v_cndmask_b32_e32 v48, v51, v44, vcc
	v_cmp_ngt_f32_e32 vcc, s8, v46
	s_nop 1
	v_cndmask_b32_e32 v43, 0, v43, vcc
	v_cmp_nlt_f32_e32 vcc, s9, v46
	v_cvt_f32_f16_e32 v46, v47
	v_cvt_f32_f16_sdwa v47, v47 dst_sel:DWORD dst_unused:UNUSED_PAD src0_sel:WORD_1
	v_cndmask_b32_e32 v49, v51, v43, vcc
	v_pk_add_f32 v[48:49], v[48:49], 1.0 op_sel_hi:[1,0]
	s_nop 0
	v_frexp_mant_f32_e32 v43, v48
	v_rcp_f32_e32 v43, v43
	v_frexp_exp_i32_f32_e32 v44, v48
	v_sub_u32_e32 v44, 0, v44
	v_frexp_exp_i32_f32_e32 v50, v49
	v_ldexp_f32 v44, v43, v44
	v_frexp_mant_f32_e32 v43, v49
	v_cvt_f32_f16_e32 v48, v45
	v_cvt_f32_f16_sdwa v49, v45 dst_sel:DWORD dst_unused:UNUSED_PAD src0_sel:WORD_1
	v_rcp_f32_e32 v43, v43
	v_sub_u32_e32 v45, 0, v50
	v_pk_add_f32 v[40:41], v[40:41], v[48:49]
	s_nop 0
	v_pk_add_f32 v[40:41], v[40:41], v[46:47]
	v_ldexp_f32 v45, v43, v45
	v_mul_f32_e32 v46, 0x3d92220c, v40
	v_fma_f32 v46, -v40, v46, s10
	v_mul_f32_e32 v46, v40, v46
	v_mul_f32_e32 v47, 0x3fb8aa3b, v46
	v_fma_f32 v48, v46, s11, -v47
	v_rndne_f32_e32 v49, v47
	v_fmac_f32_e32 v48, 0x32a5705f, v46
	v_sub_f32_e32 v47, v47, v49
	v_add_f32_e32 v47, v47, v48
	v_exp_f32_e32 v47, v47
	v_cvt_i32_f32_e32 v48, v49
	v_mul_f32_e32 v43, 0x3d92220c, v41
	v_fma_f32 v43, -v41, v43, s10
	v_mul_f32_e32 v43, v41, v43
	v_pk_mul_f32 v[38:39], v[38:39], v[44:45]
	v_mul_f32_e32 v44, 0x3fb8aa3b, v43
	v_cvt_pk_f16_f32 v38, v38, v39
	v_ldexp_f32 v39, v47, v48
	v_fma_f32 v45, v43, s11, -v44
	v_rndne_f32_e32 v47, v44
	v_fmac_f32_e32 v45, 0x32a5705f, v43
	v_sub_f32_e32 v44, v44, v47
	v_add_f32_e32 v44, v44, v45
	v_exp_f32_e32 v45, v44
	v_cvt_i32_f32_e32 v47, v47
	v_cmp_ngt_f32_e32 vcc, s8, v46
	v_add_u32_e32 v48, s18, v0
	v_add_u32_e32 v49, s17, v1
	v_cndmask_b32_e32 v39, 0, v39, vcc
	v_cmp_nlt_f32_e32 vcc, s9, v46
	v_lshlrev_b32_e32 v0, 1, v48
	s_nop 0
	v_cndmask_b32_e32 v44, v51, v39, vcc
	v_ldexp_f32 v39, v45, v47
	v_cmp_ngt_f32_e32 vcc, s8, v43
	s_nop 1
	v_cndmask_b32_e32 v39, 0, v39, vcc
	v_cmp_nlt_f32_e32 vcc, s9, v43
	s_nop 1
	v_cndmask_b32_e32 v45, v51, v39, vcc
	v_pk_add_f32 v[44:45], v[44:45], 1.0 op_sel_hi:[1,0]
	s_nop 0
	v_frexp_mant_f32_e32 v39, v44
	v_rcp_f32_e32 v39, v39
	v_frexp_exp_i32_f32_e32 v43, v44
	v_frexp_mant_f32_e32 v44, v45
	v_rcp_f32_e32 v46, v44
	v_sub_u32_e32 v43, 0, v43
	v_ldexp_f32 v44, v39, v43
	v_frexp_exp_i32_f32_e32 v39, v45
	v_sub_u32_e32 v39, 0, v39
	v_ldexp_f32 v45, v46, v39
	v_pk_mul_f32 v[40:41], v[40:41], v[44:45]
	s_nop 0
	v_cvt_pk_f16_f32 v39, v40, v41
	v_add_u32_e32 v40, 0xffffff80, v52
	buffer_store_dwordx2 v[38:39], v40, s[0:3], 0 offen
	s_waitcnt lgkmcnt(0)
	s_barrier
	ds_write2_b32 v53, v34, v35 offset1:32
	ds_write2_b32 v53, v36, v37 offset0:64 offset1:96
	s_waitcnt lgkmcnt(0)
	s_barrier
	buffer_load_dwordx2 v[0:1], v0, s[12:15], 0 offen
	v_lshlrev_b32_e32 v34, 1, v49
	buffer_load_dwordx2 v[44:45], v34, s[4:7], 0 offen
	ds_read_b128 v[34:37], v54
	s_waitcnt vmcnt(1)
	v_cvt_f32_f16_e32 v38, v0
	v_cvt_f32_f16_sdwa v39, v0 dst_sel:DWORD dst_unused:UNUSED_PAD src0_sel:WORD_1
	s_waitcnt vmcnt(0)
	v_cvt_f32_f16_e32 v40, v44
	v_cvt_f32_f16_sdwa v41, v44 dst_sel:DWORD dst_unused:UNUSED_PAD src0_sel:WORD_1
	s_waitcnt lgkmcnt(0)
	v_pk_add_f32 v[34:35], v[34:35], v[38:39]
	s_nop 0
	v_pk_add_f32 v[34:35], v[34:35], v[40:41]
	s_nop 0
	v_mul_f32_e32 v0, 0x3d92220c, v34
	v_fma_f32 v0, -v34, v0, s10
	v_mul_f32_e32 v0, v34, v0
	v_mul_f32_e32 v38, 0x3fb8aa3b, v0
	v_fma_f32 v39, v0, s11, -v38
	v_rndne_f32_e32 v40, v38
	v_fmac_f32_e32 v39, 0x32a5705f, v0
	v_sub_f32_e32 v38, v38, v40
	v_add_f32_e32 v38, v38, v39
	v_exp_f32_e32 v43, v38
	v_cvt_i32_f32_e32 v44, v40
	v_cmp_ngt_f32_e32 vcc, s8, v0
	v_mfma_f32_16x16x32_f16 v[38:41], v[30:33], v[2:5], 0
	v_ldexp_f32 v43, v43, v44
	v_mul_f32_e32 v44, 0x3d92220c, v35
	v_fma_f32 v44, -v35, v44, s10
	v_mul_f32_e32 v44, v35, v44
	v_mul_f32_e32 v46, 0x3fb8aa3b, v44
	v_fma_f32 v47, v44, s11, -v46
	v_rndne_f32_e32 v50, v46
	v_fmac_f32_e32 v47, 0x32a5705f, v44
	v_sub_f32_e32 v46, v46, v50
	v_add_f32_e32 v46, v46, v47
	v_exp_f32_e32 v47, v46
	v_cvt_i32_f32_e32 v50, v50
	v_cndmask_b32_e32 v43, 0, v43, vcc
	v_cmp_nlt_f32_e32 vcc, s9, v0
	v_ldexp_f32 v0, v47, v50
	s_nop 0
	v_cndmask_b32_e32 v46, v51, v43, vcc
	v_cmp_ngt_f32_e32 vcc, s8, v44
	v_add_u32_e32 v50, s16, v42
	v_cvt_f32_f16_sdwa v43, v1 dst_sel:DWORD dst_unused:UNUSED_PAD src0_sel:WORD_1
	v_cndmask_b32_e32 v0, 0, v0, vcc
	v_cmp_nlt_f32_e32 vcc, s9, v44
	v_cvt_f32_f16_e32 v44, v45
	v_cvt_f32_f16_sdwa v45, v45 dst_sel:DWORD dst_unused:UNUSED_PAD src0_sel:WORD_1
	v_cndmask_b32_e32 v47, v51, v0, vcc
	v_pk_add_f32 v[46:47], v[46:47], 1.0 op_sel_hi:[1,0]
	s_nop 0
	v_frexp_mant_f32_e32 v0, v46
	v_rcp_f32_e32 v0, v0
	v_frexp_exp_i32_f32_e32 v42, v46
	v_sub_u32_e32 v42, 0, v42
	v_frexp_mant_f32_e32 v46, v47
	v_ldexp_f32 v0, v0, v42
	v_cvt_f32_f16_e32 v42, v1
	v_rcp_f32_e32 v46, v46
	v_frexp_exp_i32_f32_e32 v47, v47
	v_sub_u32_e32 v1, 0, v47
	v_pk_add_f32 v[36:37], v[36:37], v[42:43]
	v_ldexp_f32 v1, v46, v1
	v_pk_add_f32 v[36:37], v[36:37], v[44:45]
	v_pk_mul_f32 v[0:1], v[34:35], v[0:1]
	v_mul_f32_e32 v42, 0x3d92220c, v36
	v_fma_f32 v42, -v36, v42, s10
	v_mul_f32_e32 v42, v36, v42
	v_mul_f32_e32 v43, 0x3fb8aa3b, v42
	v_fma_f32 v44, v42, s11, -v43
	v_rndne_f32_e32 v45, v43
	v_fmac_f32_e32 v44, 0x32a5705f, v42
	v_sub_f32_e32 v43, v43, v45
	v_add_f32_e32 v43, v43, v44
	v_exp_f32_e32 v43, v43
	v_cvt_i32_f32_e32 v44, v45
	v_mul_f32_e32 v34, 0x3d92220c, v37
	v_fma_f32 v34, -v37, v34, s10
	v_mul_f32_e32 v35, v37, v34
	v_mul_f32_e32 v34, 0x3fb8aa3b, v35
	v_cvt_pk_f16_f32 v0, v0, v1
	v_ldexp_f32 v1, v43, v44
	v_fma_f32 v43, v35, s11, -v34
	v_rndne_f32_e32 v44, v34
	v_fmac_f32_e32 v43, 0x32a5705f, v35
	v_sub_f32_e32 v34, v34, v44
	v_add_f32_e32 v34, v34, v43
	v_exp_f32_e32 v43, v34
	v_cvt_i32_f32_e32 v44, v44
	v_cmp_ngt_f32_e32 vcc, s8, v42
	s_nop 1
	v_cndmask_b32_e32 v1, 0, v1, vcc
	v_cmp_nlt_f32_e32 vcc, s9, v42
	s_nop 1
	v_cndmask_b32_e32 v34, v51, v1, vcc
	v_ldexp_f32 v1, v43, v44
	v_cmp_ngt_f32_e32 vcc, s8, v35
	s_nop 1
	v_cndmask_b32_e32 v1, 0, v1, vcc
	v_cmp_nlt_f32_e32 vcc, s9, v35
	s_nop 1
	v_cndmask_b32_e32 v35, v51, v1, vcc
	v_pk_add_f32 v[34:35], v[34:35], 1.0 op_sel_hi:[1,0]
	s_nop 0
	v_frexp_mant_f32_e32 v1, v34
	v_rcp_f32_e32 v1, v1
	v_frexp_mant_f32_e32 v42, v35
	v_frexp_exp_i32_f32_e32 v34, v34
	v_rcp_f32_e32 v42, v42
	v_sub_u32_e32 v34, 0, v34
	v_ldexp_f32 v34, v1, v34
	v_frexp_exp_i32_f32_e32 v1, v35
	v_sub_u32_e32 v1, 0, v1
	v_ldexp_f32 v35, v42, v1
	v_pk_mul_f32 v[34:35], v[36:37], v[34:35]
	s_nop 0
	v_cvt_pk_f16_f32 v1, v34, v35
	v_lshlrev_b32_e32 v34, 1, v50
	buffer_store_dwordx2 v[0:1], v34, s[0:3], 0 offen
	v_add_u32_e32 v0, s18, v48
	v_add_u32_e32 v1, s17, v49
	v_lshlrev_b32_e32 v52, 1, v0
	s_waitcnt lgkmcnt(0)
	s_barrier
	ds_write2_b32 v53, v38, v39 offset1:32
	ds_write2_b32 v53, v40, v41 offset0:64 offset1:96
	s_waitcnt lgkmcnt(0)
	s_barrier
	buffer_load_dwordx2 v[42:43], v52, s[12:15], 0 offen
	v_lshlrev_b32_e32 v55, 1, v1
	buffer_load_dwordx2 v[44:45], v55, s[4:7], 0 offen
	ds_read_b128 v[34:37], v54
	s_waitcnt vmcnt(1)
	v_cvt_f32_f16_e32 v38, v42
	v_cvt_f32_f16_sdwa v39, v42 dst_sel:DWORD dst_unused:UNUSED_PAD src0_sel:WORD_1
	s_waitcnt vmcnt(0)
	v_cvt_f32_f16_e32 v40, v44
	v_cvt_f32_f16_sdwa v41, v44 dst_sel:DWORD dst_unused:UNUSED_PAD src0_sel:WORD_1
	s_waitcnt lgkmcnt(0)
	v_pk_add_f32 v[34:35], v[34:35], v[38:39]
	s_nop 0
	v_pk_add_f32 v[46:47], v[34:35], v[40:41]
	s_nop 0
	v_mul_f32_e32 v34, 0x3d92220c, v46
	v_fma_f32 v34, -v46, v34, s10
	v_mul_f32_e32 v34, v46, v34
	v_mul_f32_e32 v35, 0x3fb8aa3b, v34
	v_fma_f32 v38, v34, s11, -v35
	v_rndne_f32_e32 v39, v35
	v_fmac_f32_e32 v38, 0x32a5705f, v34
	v_sub_f32_e32 v35, v35, v39
	v_add_f32_e32 v35, v35, v38
	v_exp_f32_e32 v35, v35
	v_cvt_i32_f32_e32 v42, v39
	v_cmp_ngt_f32_e32 vcc, s8, v34
	v_mfma_f32_16x16x32_f16 v[38:41], v[30:33], v[10:13], 0
	v_ldexp_f32 v35, v35, v42
	v_mul_f32_e32 v42, 0x3d92220c, v47
	v_fma_f32 v42, -v47, v42, s10
	v_mul_f32_e32 v42, v47, v42
	v_mul_f32_e32 v44, 0x3fb8aa3b, v42
	v_fma_f32 v48, v42, s11, -v44
	v_rndne_f32_e32 v49, v44
	v_fmac_f32_e32 v48, 0x32a5705f, v42
	v_sub_f32_e32 v44, v44, v49
	v_add_f32_e32 v44, v44, v48
	v_exp_f32_e32 v44, v44
	v_cvt_i32_f32_e32 v48, v49
	v_cndmask_b32_e32 v35, 0, v35, vcc
	v_cmp_nlt_f32_e32 vcc, s9, v34
	s_nop 1
	v_cndmask_b32_e32 v34, v51, v35, vcc
	v_ldexp_f32 v35, v44, v48
	v_cmp_ngt_f32_e32 vcc, s8, v42
	v_cvt_f32_f16_e32 v44, v45
	v_cvt_f32_f16_sdwa v45, v45 dst_sel:DWORD dst_unused:UNUSED_PAD src0_sel:WORD_1
	v_cndmask_b32_e32 v35, 0, v35, vcc
	v_cmp_nlt_f32_e32 vcc, s9, v42
	s_nop 1
	v_cndmask_b32_e32 v35, v51, v35, vcc
	v_pk_add_f32 v[48:49], v[34:35], 1.0 op_sel_hi:[1,0]
	s_nop 0
	v_frexp_mant_f32_e32 v34, v48
	v_rcp_f32_e32 v35, v34
	v_frexp_exp_i32_f32_e32 v42, v48
	v_sub_u32_e32 v42, 0, v42
	v_add_u32_e32 v34, s16, v50
	v_ldexp_f32 v42, v35, v42
	v_frexp_mant_f32_e32 v35, v49
	v_frexp_exp_i32_f32_e32 v50, v49
	v_cvt_f32_f16_e32 v48, v43
	v_cvt_f32_f16_sdwa v49, v43 dst_sel:DWORD dst_unused:UNUSED_PAD src0_sel:WORD_1
	v_rcp_f32_e32 v35, v35
	v_sub_u32_e32 v43, 0, v50
	v_pk_add_f32 v[36:37], v[36:37], v[48:49]
	s_nop 0
	v_pk_add_f32 v[36:37], v[36:37], v[44:45]
	v_ldexp_f32 v43, v35, v43
	v_mul_f32_e32 v44, 0x3d92220c, v36
	v_fma_f32 v44, -v36, v44, s10
	v_mul_f32_e32 v44, v36, v44
	v_mul_f32_e32 v45, 0x3fb8aa3b, v44
	v_fma_f32 v48, v44, s11, -v45
	v_rndne_f32_e32 v49, v45
	v_fmac_f32_e32 v48, 0x32a5705f, v44
	v_sub_f32_e32 v45, v45, v49
	v_add_f32_e32 v45, v45, v48
	v_exp_f32_e32 v45, v45
	v_cvt_i32_f32_e32 v48, v49
	v_pk_mul_f32 v[42:43], v[46:47], v[42:43]
	v_cmp_ngt_f32_e32 vcc, s8, v44
	v_cvt_pk_f16_f32 v42, v42, v43
	v_mul_f32_e32 v43, 0x3d92220c, v37
	v_fma_f32 v43, -v37, v43, s10
	v_mul_f32_e32 v43, v37, v43
	v_ldexp_f32 v35, v45, v48
	v_mul_f32_e32 v45, 0x3fb8aa3b, v43
	v_fma_f32 v46, v43, s11, -v45
	v_rndne_f32_e32 v47, v45
	v_fmac_f32_e32 v46, 0x32a5705f, v43
	v_sub_f32_e32 v45, v45, v47
	v_add_f32_e32 v45, v45, v46
	v_exp_f32_e32 v45, v45
	v_cvt_i32_f32_e32 v46, v47
	v_cndmask_b32_e32 v35, 0, v35, vcc
	v_cmp_nlt_f32_e32 vcc, s9, v44
	s_nop 1
	v_cndmask_b32_e32 v44, v51, v35, vcc
	v_ldexp_f32 v35, v45, v46
	v_cmp_ngt_f32_e32 vcc, s8, v43
	s_nop 1
	v_cndmask_b32_e32 v35, 0, v35, vcc
	v_cmp_nlt_f32_e32 vcc, s9, v43
	s_nop 1
	v_cndmask_b32_e32 v45, v51, v35, vcc
	v_pk_add_f32 v[44:45], v[44:45], 1.0 op_sel_hi:[1,0]
	s_nop 0
	v_frexp_mant_f32_e32 v35, v44
	v_rcp_f32_e32 v35, v35
	v_frexp_exp_i32_f32_e32 v43, v44
	v_frexp_mant_f32_e32 v44, v45
	v_rcp_f32_e32 v46, v44
	v_sub_u32_e32 v43, 0, v43
	v_ldexp_f32 v44, v35, v43
	v_frexp_exp_i32_f32_e32 v35, v45
	v_sub_u32_e32 v35, 0, v35
	v_ldexp_f32 v45, v46, v35
	v_pk_mul_f32 v[36:37], v[36:37], v[44:45]
	v_lshlrev_b32_e32 v35, 1, v34
	v_cvt_pk_f16_f32 v43, v36, v37
	buffer_store_dwordx2 v[42:43], v35, s[0:3], 0 offen
	s_waitcnt lgkmcnt(0)
	s_barrier
	ds_write2_b32 v53, v38, v39 offset1:32
	ds_write2_b32 v53, v40, v41 offset0:64 offset1:96
	s_waitcnt lgkmcnt(0)
	s_barrier
	buffer_load_dwordx2 v[44:45], v52, s[12:15], 0 offen offset:64
	buffer_load_dwordx2 v[46:47], v55, s[4:7], 0 offen offset:64
	ds_read_b128 v[36:39], v54
	s_waitcnt vmcnt(1)
	v_cvt_f32_f16_e32 v40, v44
	v_cvt_f32_f16_sdwa v41, v44 dst_sel:DWORD dst_unused:UNUSED_PAD src0_sel:WORD_1
	s_waitcnt vmcnt(0)
	v_cvt_f32_f16_e32 v42, v46
	v_cvt_f32_f16_sdwa v43, v46 dst_sel:DWORD dst_unused:UNUSED_PAD src0_sel:WORD_1
	s_waitcnt lgkmcnt(0)
	v_pk_add_f32 v[36:37], v[36:37], v[40:41]
	s_nop 0
	v_pk_add_f32 v[36:37], v[36:37], v[42:43]
	s_nop 0
	v_mul_f32_e32 v40, 0x3d92220c, v36
	v_fma_f32 v40, -v36, v40, s10
	v_mul_f32_e32 v40, v36, v40
	v_mul_f32_e32 v41, 0x3fb8aa3b, v40
	v_fma_f32 v42, v40, s11, -v41
	v_rndne_f32_e32 v43, v41
	v_fmac_f32_e32 v42, 0x32a5705f, v40
	v_sub_f32_e32 v41, v41, v43
	v_add_f32_e32 v41, v41, v42
	v_exp_f32_e32 v41, v41
	v_cvt_i32_f32_e32 v42, v43
	v_cmp_ngt_f32_e32 vcc, s8, v40
	v_ldexp_f32 v41, v41, v42
	v_mul_f32_e32 v42, 0x3d92220c, v37
	v_fma_f32 v42, -v37, v42, s10
	v_mul_f32_e32 v42, v37, v42
	v_mul_f32_e32 v43, 0x3fb8aa3b, v42
	v_fma_f32 v44, v42, s11, -v43
	v_rndne_f32_e32 v46, v43
	v_fmac_f32_e32 v44, 0x32a5705f, v42
	v_sub_f32_e32 v43, v43, v46
	v_add_f32_e32 v43, v43, v44
	v_exp_f32_e32 v43, v43
	v_cvt_i32_f32_e32 v44, v46
	v_cndmask_b32_e32 v41, 0, v41, vcc
	v_cmp_nlt_f32_e32 vcc, s9, v40
	s_nop 1
	v_cndmask_b32_e32 v40, v51, v41, vcc
	v_ldexp_f32 v41, v43, v44
	v_cmp_ngt_f32_e32 vcc, s8, v42
	s_nop 1
	v_cndmask_b32_e32 v41, 0, v41, vcc
	v_cmp_nlt_f32_e32 vcc, s9, v42
	s_nop 1
	v_cndmask_b32_e32 v41, v51, v41, vcc
	v_pk_add_f32 v[48:49], v[40:41], 1.0 op_sel_hi:[1,0]
	s_nop 0
	v_frexp_mant_f32_e32 v40, v48
	v_rcp_f32_e32 v44, v40
	v_frexp_exp_i32_f32_e32 v46, v48
	v_sub_u32_e32 v46, 0, v46
	v_frexp_mant_f32_e32 v50, v49
	v_frexp_exp_i32_f32_e32 v56, v49
	v_cvt_f32_f16_e32 v48, v45
	v_cvt_f32_f16_sdwa v49, v45 dst_sel:DWORD dst_unused:UNUSED_PAD src0_sel:WORD_1
	v_ldexp_f32 v44, v44, v46
	v_cvt_f32_f16_e32 v46, v47
	v_cvt_f32_f16_sdwa v47, v47 dst_sel:DWORD dst_unused:UNUSED_PAD src0_sel:WORD_1
	v_pk_add_f32 v[38:39], v[38:39], v[48:49]
	v_rcp_f32_e32 v50, v50
	v_sub_u32_e32 v45, 0, v56
	v_pk_add_f32 v[38:39], v[38:39], v[46:47]
	v_mfma_f32_16x16x32_f16 v[40:43], v[30:33], v[14:17], 0
	v_mul_f32_e32 v46, 0x3d92220c, v38
	v_fma_f32 v46, -v38, v46, s10
	v_mul_f32_e32 v46, v38, v46
	v_mul_f32_e32 v47, 0x3fb8aa3b, v46
	v_fma_f32 v48, v46, s11, -v47
	v_rndne_f32_e32 v49, v47
	v_fmac_f32_e32 v48, 0x32a5705f, v46
	v_sub_f32_e32 v47, v47, v49
	v_add_f32_e32 v47, v47, v48
	v_ldexp_f32 v45, v50, v45
	v_exp_f32_e32 v47, v47
	v_cvt_i32_f32_e32 v48, v49
	v_pk_mul_f32 v[36:37], v[36:37], v[44:45]
	v_mul_f32_e32 v44, 0x3d92220c, v39
	v_fma_f32 v44, -v39, v44, s10
	v_mul_f32_e32 v45, v39, v44
	v_mul_f32_e32 v44, 0x3fb8aa3b, v45
	v_cvt_pk_f16_f32 v36, v36, v37
	v_ldexp_f32 v37, v47, v48
	v_fma_f32 v47, v45, s11, -v44
	v_rndne_f32_e32 v48, v44
	v_fmac_f32_e32 v47, 0x32a5705f, v45
	v_sub_f32_e32 v44, v44, v48
	v_add_f32_e32 v44, v44, v47
	v_exp_f32_e32 v47, v44
	v_cvt_i32_f32_e32 v48, v48
	v_cmp_ngt_f32_e32 vcc, s8, v46
	v_mfma_f32_16x16x32_f16 v[30:33], v[30:33], v[18:21], 0
	s_nop 0
	v_cndmask_b32_e32 v37, 0, v37, vcc
	v_cmp_nlt_f32_e32 vcc, s9, v46
	s_nop 1
	v_cndmask_b32_e32 v44, v51, v37, vcc
	v_ldexp_f32 v37, v47, v48
	v_cmp_ngt_f32_e32 vcc, s8, v45
	s_nop 1
	v_cndmask_b32_e32 v37, 0, v37, vcc
	v_cmp_nlt_f32_e32 vcc, s9, v45
	s_nop 1
	v_cndmask_b32_e32 v45, v51, v37, vcc
	v_pk_add_f32 v[44:45], v[44:45], 1.0 op_sel_hi:[1,0]
	s_nop 0
	v_frexp_mant_f32_e32 v37, v44
	v_rcp_f32_e32 v37, v37
	v_frexp_mant_f32_e32 v46, v45
	v_frexp_exp_i32_f32_e32 v44, v44
	v_rcp_f32_e32 v46, v46
	v_sub_u32_e32 v44, 0, v44
	v_ldexp_f32 v44, v37, v44
	v_frexp_exp_i32_f32_e32 v37, v45
	v_sub_u32_e32 v37, 0, v37
	v_ldexp_f32 v45, v46, v37
	v_pk_mul_f32 v[38:39], v[38:39], v[44:45]
	s_nop 0
	v_cvt_pk_f16_f32 v37, v38, v39
	buffer_store_dwordx2 v[36:37], v35, s[0:3], 0 offen offset:64
	s_waitcnt lgkmcnt(0)
	s_barrier
	ds_write2_b32 v53, v40, v41 offset1:32
	ds_write2_b32 v53, v42, v43 offset0:64 offset1:96
	s_waitcnt lgkmcnt(0)
	s_barrier
	buffer_load_dwordx2 v[40:41], v52, s[12:15], 0 offen offset:128
	buffer_load_dwordx2 v[42:43], v55, s[4:7], 0 offen offset:128
	ds_read_b128 v[36:39], v54
	s_waitcnt vmcnt(1)
	v_cvt_f32_f16_e32 v44, v40
	v_cvt_f32_f16_sdwa v45, v40 dst_sel:DWORD dst_unused:UNUSED_PAD src0_sel:WORD_1
	s_waitcnt vmcnt(0)
	v_cvt_f32_f16_e32 v46, v42
	v_cvt_f32_f16_sdwa v47, v42 dst_sel:DWORD dst_unused:UNUSED_PAD src0_sel:WORD_1
	s_waitcnt lgkmcnt(0)
	v_pk_add_f32 v[36:37], v[36:37], v[44:45]
	s_nop 0
	v_pk_add_f32 v[36:37], v[36:37], v[46:47]
	s_nop 0
	v_mul_f32_e32 v40, 0x3d92220c, v36
	v_fma_f32 v40, -v36, v40, s10
	v_mul_f32_e32 v40, v36, v40
	v_mul_f32_e32 v42, 0x3fb8aa3b, v40
	v_fma_f32 v44, v40, s11, -v42
	v_rndne_f32_e32 v45, v42
	v_fmac_f32_e32 v44, 0x32a5705f, v40
	v_sub_f32_e32 v42, v42, v45
	v_add_f32_e32 v42, v42, v44
	v_exp_f32_e32 v42, v42
	v_cvt_i32_f32_e32 v44, v45
	v_cmp_ngt_f32_e32 vcc, s8, v40
	v_ldexp_f32 v42, v42, v44
	v_mul_f32_e32 v44, 0x3d92220c, v37
	v_fma_f32 v44, -v37, v44, s10
	v_mul_f32_e32 v45, v37, v44
	v_mul_f32_e32 v44, 0x3fb8aa3b, v45
	v_fma_f32 v46, v45, s11, -v44
	v_rndne_f32_e32 v47, v44
	v_fmac_f32_e32 v46, 0x32a5705f, v45
	v_sub_f32_e32 v44, v44, v47
	v_add_f32_e32 v44, v44, v46
	v_exp_f32_e32 v46, v44
	v_cvt_i32_f32_e32 v47, v47
	v_cndmask_b32_e32 v42, 0, v42, vcc
	v_cmp_nlt_f32_e32 vcc, s9, v40
	v_ldexp_f32 v40, v46, v47
	s_nop 0
	v_cndmask_b32_e32 v44, v51, v42, vcc
	v_cmp_ngt_f32_e32 vcc, s8, v45
	s_nop 1
	v_cndmask_b32_e32 v40, 0, v40, vcc
	v_cmp_nlt_f32_e32 vcc, s9, v45
	s_nop 1
	v_cndmask_b32_e32 v45, v51, v40, vcc
	v_pk_add_f32 v[44:45], v[44:45], 1.0 op_sel_hi:[1,0]
	s_nop 0
	v_frexp_mant_f32_e32 v40, v44
	v_rcp_f32_e32 v40, v40
	v_frexp_exp_i32_f32_e32 v42, v44
	v_sub_u32_e32 v42, 0, v42
	v_frexp_mant_f32_e32 v46, v45
	v_frexp_exp_i32_f32_e32 v47, v45
	v_cvt_f32_f16_e32 v44, v41
	v_cvt_f32_f16_sdwa v45, v41 dst_sel:DWORD dst_unused:UNUSED_PAD src0_sel:WORD_1
	v_ldexp_f32 v40, v40, v42
	v_cvt_f32_f16_e32 v42, v43
	v_cvt_f32_f16_sdwa v43, v43 dst_sel:DWORD dst_unused:UNUSED_PAD src0_sel:WORD_1
	v_pk_add_f32 v[38:39], v[38:39], v[44:45]
	v_rcp_f32_e32 v46, v46
	v_sub_u32_e32 v41, 0, v47
	v_pk_add_f32 v[38:39], v[38:39], v[42:43]
	v_ldexp_f32 v41, v46, v41
	v_mul_f32_e32 v42, 0x3d92220c, v38
	v_fma_f32 v42, -v38, v42, s10
	v_mul_f32_e32 v42, v38, v42
	v_mul_f32_e32 v43, 0x3fb8aa3b, v42
	v_fma_f32 v44, v42, s11, -v43
	v_rndne_f32_e32 v45, v43
	v_fmac_f32_e32 v44, 0x32a5705f, v42
	v_sub_f32_e32 v43, v43, v45
	v_add_f32_e32 v43, v43, v44
	v_exp_f32_e32 v43, v43
	v_cvt_i32_f32_e32 v44, v45
	v_pk_mul_f32 v[36:37], v[36:37], v[40:41]
	v_mul_f32_e32 v40, 0x3d92220c, v39
	v_fma_f32 v40, -v39, v40, s10
	v_mul_f32_e32 v41, v39, v40
	v_mul_f32_e32 v40, 0x3fb8aa3b, v41
	v_cvt_pk_f16_f32 v36, v36, v37
	v_ldexp_f32 v37, v43, v44
	v_fma_f32 v43, v41, s11, -v40
	v_rndne_f32_e32 v44, v40
	v_fmac_f32_e32 v43, 0x32a5705f, v41
	v_sub_f32_e32 v40, v40, v44
	v_add_f32_e32 v40, v40, v43
	v_exp_f32_e32 v43, v40
	v_cvt_i32_f32_e32 v44, v44
	v_cmp_ngt_f32_e32 vcc, s8, v42
	v_add_u32_e32 v46, 0x60, v1
	s_nop 0
	v_cndmask_b32_e32 v37, 0, v37, vcc
	v_cmp_nlt_f32_e32 vcc, s9, v42
	s_nop 1
	v_cndmask_b32_e32 v40, v51, v37, vcc
	v_ldexp_f32 v37, v43, v44
	v_cmp_ngt_f32_e32 vcc, s8, v41
	s_nop 1
	v_cndmask_b32_e32 v37, 0, v37, vcc
	v_cmp_nlt_f32_e32 vcc, s9, v41
	s_nop 1
	v_cndmask_b32_e32 v41, v51, v37, vcc
	v_pk_add_f32 v[40:41], v[40:41], 1.0 op_sel_hi:[1,0]
	s_nop 0
	v_frexp_mant_f32_e32 v37, v40
	v_rcp_f32_e32 v37, v37
	v_frexp_mant_f32_e32 v42, v41
	v_frexp_exp_i32_f32_e32 v40, v40
	v_rcp_f32_e32 v42, v42
	v_sub_u32_e32 v40, 0, v40
	v_ldexp_f32 v40, v37, v40
	v_frexp_exp_i32_f32_e32 v37, v41
	v_sub_u32_e32 v37, 0, v37
	v_ldexp_f32 v41, v42, v37
	v_pk_mul_f32 v[38:39], v[38:39], v[40:41]
	s_nop 0
	v_cvt_pk_f16_f32 v37, v38, v39
	buffer_store_dwordx2 v[36:37], v35, s[0:3], 0 offen offset:128
	v_add_u32_e32 v35, 0x60, v0
	s_waitcnt lgkmcnt(0)
	s_barrier
	ds_write2_b32 v53, v30, v31 offset1:32
	ds_write2_b32 v53, v32, v33 offset0:64 offset1:96
	v_lshlrev_b32_e32 v30, 1, v35
	s_waitcnt lgkmcnt(0)
	s_barrier
	buffer_load_dwordx2 v[40:41], v30, s[12:15], 0 offen
	v_lshlrev_b32_e32 v30, 1, v46
	buffer_load_dwordx2 v[42:43], v30, s[4:7], 0 offen
	ds_read_b128 v[30:33], v54
	v_add_lshl_u32 v35, v35, s18, 1
	v_add_lshl_u32 v46, v46, s17, 1
	s_waitcnt vmcnt(1)
	v_cvt_f32_f16_e32 v36, v40
	v_cvt_f32_f16_sdwa v37, v40 dst_sel:DWORD dst_unused:UNUSED_PAD src0_sel:WORD_1
	s_waitcnt vmcnt(0)
	v_cvt_f32_f16_e32 v38, v42
	v_cvt_f32_f16_sdwa v39, v42 dst_sel:DWORD dst_unused:UNUSED_PAD src0_sel:WORD_1
	s_waitcnt lgkmcnt(0)
	v_pk_add_f32 v[30:31], v[30:31], v[36:37]
	s_nop 0
	v_pk_add_f32 v[30:31], v[30:31], v[38:39]
	s_nop 0
	v_mul_f32_e32 v36, 0x3d92220c, v30
	v_fma_f32 v36, -v30, v36, s10
	v_mul_f32_e32 v40, v30, v36
	v_mul_f32_e32 v36, 0x3fb8aa3b, v40
	v_fma_f32 v37, v40, s11, -v36
	v_rndne_f32_e32 v38, v36
	v_fmac_f32_e32 v37, 0x32a5705f, v40
	v_sub_f32_e32 v36, v36, v38
	v_add_f32_e32 v36, v36, v37
	v_exp_f32_e32 v42, v36
	v_cvt_i32_f32_e32 v44, v38
	v_cmp_ngt_f32_e32 vcc, s8, v40
	v_mfma_f32_16x16x32_f16 v[36:39], v[26:29], v[18:21], 0
	v_ldexp_f32 v42, v42, v44
	v_mul_f32_e32 v44, 0x3d92220c, v31
	v_fma_f32 v44, -v31, v44, s10
	v_mul_f32_e32 v45, v31, v44
	v_mul_f32_e32 v44, 0x3fb8aa3b, v45
	v_fma_f32 v47, v45, s11, -v44
	v_rndne_f32_e32 v48, v44
	v_fmac_f32_e32 v47, 0x32a5705f, v45
	v_sub_f32_e32 v44, v44, v48
	v_add_f32_e32 v44, v44, v47
	v_exp_f32_e32 v47, v44
	v_cvt_i32_f32_e32 v48, v48
	v_cndmask_b32_e32 v42, 0, v42, vcc
	v_cmp_nlt_f32_e32 vcc, s9, v40
	v_ldexp_f32 v40, v47, v48
	s_nop 0
	v_cndmask_b32_e32 v44, v51, v42, vcc
	v_cmp_ngt_f32_e32 vcc, s8, v45
	v_add_u32_e32 v47, 0x60, v34
	s_nop 0
	v_cndmask_b32_e32 v40, 0, v40, vcc
	v_cmp_nlt_f32_e32 vcc, s9, v45
	s_nop 1
	v_cndmask_b32_e32 v45, v51, v40, vcc
	v_pk_add_f32 v[44:45], v[44:45], 1.0 op_sel_hi:[1,0]
	s_nop 0
	v_frexp_mant_f32_e32 v40, v44
	v_rcp_f32_e32 v40, v40
	v_frexp_exp_i32_f32_e32 v42, v44
	v_sub_u32_e32 v42, 0, v42
	v_frexp_mant_f32_e32 v48, v45
	v_frexp_exp_i32_f32_e32 v49, v45
	v_cvt_f32_f16_e32 v44, v41
	v_cvt_f32_f16_sdwa v45, v41 dst_sel:DWORD dst_unused:UNUSED_PAD src0_sel:WORD_1
	v_ldexp_f32 v40, v40, v42
	v_cvt_f32_f16_e32 v42, v43
	v_cvt_f32_f16_sdwa v43, v43 dst_sel:DWORD dst_unused:UNUSED_PAD src0_sel:WORD_1
	v_pk_add_f32 v[32:33], v[32:33], v[44:45]
	v_rcp_f32_e32 v48, v48
	v_sub_u32_e32 v41, 0, v49
	v_pk_add_f32 v[32:33], v[32:33], v[42:43]
	v_ldexp_f32 v41, v48, v41
	v_mul_f32_e32 v42, 0x3d92220c, v32
	v_fma_f32 v42, -v32, v42, s10
	v_mul_f32_e32 v42, v32, v42
	v_mul_f32_e32 v43, 0x3fb8aa3b, v42
	v_fma_f32 v44, v42, s11, -v43
	v_rndne_f32_e32 v45, v43
	v_fmac_f32_e32 v44, 0x32a5705f, v42
	v_sub_f32_e32 v43, v43, v45
	v_add_f32_e32 v43, v43, v44
	v_exp_f32_e32 v43, v43
	v_cvt_i32_f32_e32 v44, v45
	v_pk_mul_f32 v[30:31], v[30:31], v[40:41]
	v_mul_f32_e32 v40, 0x3d92220c, v33
	v_fma_f32 v40, -v33, v40, s10
	v_mul_f32_e32 v41, v33, v40
	v_mul_f32_e32 v40, 0x3fb8aa3b, v41
	v_cvt_pk_f16_f32 v30, v30, v31
	v_ldexp_f32 v31, v43, v44
	v_fma_f32 v43, v41, s11, -v40
	v_rndne_f32_e32 v44, v40
	v_fmac_f32_e32 v43, 0x32a5705f, v41
	v_sub_f32_e32 v40, v40, v44
	v_add_f32_e32 v40, v40, v43
	v_exp_f32_e32 v43, v40
	v_cvt_i32_f32_e32 v44, v44
	v_cmp_ngt_f32_e32 vcc, s8, v42
	s_nop 1
	v_cndmask_b32_e32 v31, 0, v31, vcc
	v_cmp_nlt_f32_e32 vcc, s9, v42
	s_nop 1
	v_cndmask_b32_e32 v40, v51, v31, vcc
	v_ldexp_f32 v31, v43, v44
	v_cmp_ngt_f32_e32 vcc, s8, v41
	s_nop 1
	v_cndmask_b32_e32 v31, 0, v31, vcc
	v_cmp_nlt_f32_e32 vcc, s9, v41
	s_nop 1
	v_cndmask_b32_e32 v41, v51, v31, vcc
	v_pk_add_f32 v[40:41], v[40:41], 1.0 op_sel_hi:[1,0]
	s_nop 0
	v_frexp_mant_f32_e32 v31, v40
	v_rcp_f32_e32 v31, v31
	v_frexp_mant_f32_e32 v42, v41
	v_frexp_exp_i32_f32_e32 v40, v40
	v_rcp_f32_e32 v42, v42
	v_sub_u32_e32 v40, 0, v40
	v_ldexp_f32 v40, v31, v40
	v_frexp_exp_i32_f32_e32 v31, v41
	v_sub_u32_e32 v31, 0, v31
	v_ldexp_f32 v41, v42, v31
	v_pk_mul_f32 v[32:33], v[32:33], v[40:41]
	s_nop 0
	v_cvt_pk_f16_f32 v31, v32, v33
	v_lshlrev_b32_e32 v32, 1, v47
	buffer_store_dwordx2 v[30:31], v32, s[0:3], 0 offen
	s_waitcnt lgkmcnt(0)
	s_barrier
	ds_write2_b32 v53, v36, v37 offset1:32
	ds_write2_b32 v53, v38, v39 offset0:64 offset1:96
	s_waitcnt lgkmcnt(0)
	s_barrier
	buffer_load_dwordx2 v[40:41], v35, s[12:15], 0 offen
	buffer_load_dwordx2 v[42:43], v46, s[4:7], 0 offen
	ds_read_b128 v[30:33], v54
	v_add_lshl_u32 v47, v47, s16, 1
	s_waitcnt vmcnt(1)
	v_cvt_f32_f16_e32 v36, v40
	v_cvt_f32_f16_sdwa v37, v40 dst_sel:DWORD dst_unused:UNUSED_PAD src0_sel:WORD_1
	s_waitcnt vmcnt(0)
	v_cvt_f32_f16_e32 v38, v42
	v_cvt_f32_f16_sdwa v39, v42 dst_sel:DWORD dst_unused:UNUSED_PAD src0_sel:WORD_1
	s_waitcnt lgkmcnt(0)
	v_pk_add_f32 v[30:31], v[30:31], v[36:37]
	s_nop 0
	v_pk_add_f32 v[30:31], v[30:31], v[38:39]
	s_nop 0
	v_mul_f32_e32 v36, 0x3d92220c, v30
	v_fma_f32 v36, -v30, v36, s10
	v_mul_f32_e32 v36, v30, v36
	v_mul_f32_e32 v37, 0x3fb8aa3b, v36
	v_fma_f32 v38, v36, s11, -v37
	v_rndne_f32_e32 v39, v37
	v_fmac_f32_e32 v38, 0x32a5705f, v36
	v_sub_f32_e32 v37, v37, v39
	v_add_f32_e32 v37, v37, v38
	v_exp_f32_e32 v37, v37
	v_cvt_i32_f32_e32 v38, v39
	v_cmp_ngt_f32_e32 vcc, s8, v36
	v_ldexp_f32 v37, v37, v38
	v_mul_f32_e32 v38, 0x3d92220c, v31
	v_fma_f32 v38, -v31, v38, s10
	v_mul_f32_e32 v38, v31, v38
	v_mul_f32_e32 v39, 0x3fb8aa3b, v38
	v_fma_f32 v40, v38, s11, -v39
	v_rndne_f32_e32 v42, v39
	v_fmac_f32_e32 v40, 0x32a5705f, v38
	v_sub_f32_e32 v39, v39, v42
	v_add_f32_e32 v39, v39, v40
	v_exp_f32_e32 v39, v39
	v_cvt_i32_f32_e32 v40, v42
	v_cndmask_b32_e32 v37, 0, v37, vcc
	v_cmp_nlt_f32_e32 vcc, s9, v36
	s_nop 1
	v_cndmask_b32_e32 v36, v51, v37, vcc
	v_ldexp_f32 v37, v39, v40
	v_cmp_ngt_f32_e32 vcc, s8, v38
	s_nop 1
	v_cndmask_b32_e32 v37, 0, v37, vcc
	v_cmp_nlt_f32_e32 vcc, s9, v38
	s_nop 1
	v_cndmask_b32_e32 v37, v51, v37, vcc
	v_pk_add_f32 v[44:45], v[36:37], 1.0 op_sel_hi:[1,0]
	s_nop 0
	v_frexp_mant_f32_e32 v36, v44
	v_rcp_f32_e32 v40, v36
	v_frexp_exp_i32_f32_e32 v42, v44
	v_sub_u32_e32 v42, 0, v42
	v_frexp_mant_f32_e32 v48, v45
	v_frexp_exp_i32_f32_e32 v49, v45
	v_cvt_f32_f16_e32 v44, v41
	v_cvt_f32_f16_sdwa v45, v41 dst_sel:DWORD dst_unused:UNUSED_PAD src0_sel:WORD_1
	v_ldexp_f32 v40, v40, v42
	v_cvt_f32_f16_e32 v42, v43
	v_cvt_f32_f16_sdwa v43, v43 dst_sel:DWORD dst_unused:UNUSED_PAD src0_sel:WORD_1
	v_pk_add_f32 v[32:33], v[32:33], v[44:45]
	v_rcp_f32_e32 v48, v48
	v_sub_u32_e32 v41, 0, v49
	v_pk_add_f32 v[32:33], v[32:33], v[42:43]
	v_mfma_f32_16x16x32_f16 v[36:39], v[26:29], v[14:17], 0
	v_mul_f32_e32 v42, 0x3d92220c, v32
	v_fma_f32 v42, -v32, v42, s10
	v_mul_f32_e32 v42, v32, v42
	v_mul_f32_e32 v43, 0x3fb8aa3b, v42
	v_fma_f32 v44, v42, s11, -v43
	v_rndne_f32_e32 v45, v43
	v_fmac_f32_e32 v44, 0x32a5705f, v42
	v_sub_f32_e32 v43, v43, v45
	v_add_f32_e32 v43, v43, v44
	v_ldexp_f32 v41, v48, v41
	v_exp_f32_e32 v43, v43
	v_cvt_i32_f32_e32 v44, v45
	v_pk_mul_f32 v[30:31], v[30:31], v[40:41]
	v_mul_f32_e32 v40, 0x3d92220c, v33
	v_fma_f32 v40, -v33, v40, s10
	v_mul_f32_e32 v41, v33, v40
	v_mul_f32_e32 v40, 0x3fb8aa3b, v41
	v_cvt_pk_f16_f32 v30, v30, v31
	v_ldexp_f32 v31, v43, v44
	v_fma_f32 v43, v41, s11, -v40
	v_rndne_f32_e32 v44, v40
	v_fmac_f32_e32 v43, 0x32a5705f, v41
	v_sub_f32_e32 v40, v40, v44
	v_add_f32_e32 v40, v40, v43
	v_exp_f32_e32 v43, v40
	v_cvt_i32_f32_e32 v44, v44
	v_cmp_ngt_f32_e32 vcc, s8, v42
	s_nop 1
	v_cndmask_b32_e32 v31, 0, v31, vcc
	v_cmp_nlt_f32_e32 vcc, s9, v42
	s_nop 1
	v_cndmask_b32_e32 v40, v51, v31, vcc
	v_ldexp_f32 v31, v43, v44
	v_cmp_ngt_f32_e32 vcc, s8, v41
	s_nop 1
	v_cndmask_b32_e32 v31, 0, v31, vcc
	v_cmp_nlt_f32_e32 vcc, s9, v41
	s_nop 1
	v_cndmask_b32_e32 v41, v51, v31, vcc
	v_pk_add_f32 v[40:41], v[40:41], 1.0 op_sel_hi:[1,0]
	s_nop 0
	v_frexp_mant_f32_e32 v31, v40
	v_rcp_f32_e32 v31, v31
	v_frexp_mant_f32_e32 v42, v41
	v_frexp_exp_i32_f32_e32 v40, v40
	v_rcp_f32_e32 v42, v42
	v_sub_u32_e32 v40, 0, v40
	v_ldexp_f32 v40, v31, v40
	v_frexp_exp_i32_f32_e32 v31, v41
	v_sub_u32_e32 v31, 0, v31
	v_ldexp_f32 v41, v42, v31
	v_pk_mul_f32 v[32:33], v[32:33], v[40:41]
	s_nop 0
	v_cvt_pk_f16_f32 v31, v32, v33
	buffer_store_dwordx2 v[30:31], v47, s[0:3], 0 offen
	v_subrev_u32_e32 v30, 64, v35
	s_waitcnt lgkmcnt(0)
	s_barrier
	ds_write2_b32 v53, v36, v37 offset1:32
	ds_write2_b32 v53, v38, v39 offset0:64 offset1:96
	s_waitcnt lgkmcnt(0)
	s_barrier
	buffer_load_dwordx2 v[40:41], v30, s[12:15], 0 offen
	v_subrev_u32_e32 v30, 64, v46
	buffer_load_dwordx2 v[42:43], v30, s[4:7], 0 offen
	ds_read_b128 v[30:33], v54
	s_waitcnt vmcnt(1)
	v_cvt_f32_f16_e32 v36, v40
	v_cvt_f32_f16_sdwa v37, v40 dst_sel:DWORD dst_unused:UNUSED_PAD src0_sel:WORD_1
	s_waitcnt vmcnt(0)
	v_cvt_f32_f16_e32 v38, v42
	v_cvt_f32_f16_sdwa v39, v42 dst_sel:DWORD dst_unused:UNUSED_PAD src0_sel:WORD_1
	s_waitcnt lgkmcnt(0)
	v_pk_add_f32 v[30:31], v[30:31], v[36:37]
	s_nop 0
	v_pk_add_f32 v[30:31], v[30:31], v[38:39]
	s_nop 0
	v_mul_f32_e32 v36, 0x3d92220c, v30
	v_fma_f32 v36, -v30, v36, s10
	v_mul_f32_e32 v36, v30, v36
	v_mul_f32_e32 v37, 0x3fb8aa3b, v36
	v_fma_f32 v38, v36, s11, -v37
	v_rndne_f32_e32 v39, v37
	v_fmac_f32_e32 v38, 0x32a5705f, v36
	v_sub_f32_e32 v37, v37, v39
	v_add_f32_e32 v37, v37, v38
	v_exp_f32_e32 v37, v37
	v_cvt_i32_f32_e32 v38, v39
	v_cmp_ngt_f32_e32 vcc, s8, v36
	v_ldexp_f32 v37, v37, v38
	v_mul_f32_e32 v38, 0x3d92220c, v31
	v_fma_f32 v38, -v31, v38, s10
	v_mul_f32_e32 v38, v31, v38
	v_mul_f32_e32 v39, 0x3fb8aa3b, v38
	v_fma_f32 v40, v38, s11, -v39
	v_rndne_f32_e32 v42, v39
	v_fmac_f32_e32 v40, 0x32a5705f, v38
	v_sub_f32_e32 v39, v39, v42
	v_add_f32_e32 v39, v39, v40
	v_exp_f32_e32 v39, v39
	v_cvt_i32_f32_e32 v40, v42
	v_cndmask_b32_e32 v37, 0, v37, vcc
	v_cmp_nlt_f32_e32 vcc, s9, v36
	s_nop 1
	v_cndmask_b32_e32 v36, v51, v37, vcc
	v_ldexp_f32 v37, v39, v40
	v_cmp_ngt_f32_e32 vcc, s8, v38
	s_nop 1
	v_cndmask_b32_e32 v37, 0, v37, vcc
	v_cmp_nlt_f32_e32 vcc, s9, v38
	s_nop 1
	v_cndmask_b32_e32 v37, v51, v37, vcc
	v_pk_add_f32 v[44:45], v[36:37], 1.0 op_sel_hi:[1,0]
	s_nop 0
	v_frexp_mant_f32_e32 v36, v44
	v_rcp_f32_e32 v40, v36
	v_frexp_exp_i32_f32_e32 v42, v44
	v_sub_u32_e32 v42, 0, v42
	v_frexp_mant_f32_e32 v48, v45
	v_frexp_exp_i32_f32_e32 v49, v45
	v_cvt_f32_f16_e32 v44, v41
	v_cvt_f32_f16_sdwa v45, v41 dst_sel:DWORD dst_unused:UNUSED_PAD src0_sel:WORD_1
	v_ldexp_f32 v40, v40, v42
	v_cvt_f32_f16_e32 v42, v43
	v_cvt_f32_f16_sdwa v43, v43 dst_sel:DWORD dst_unused:UNUSED_PAD src0_sel:WORD_1
	v_pk_add_f32 v[32:33], v[32:33], v[44:45]
	v_rcp_f32_e32 v48, v48
	v_sub_u32_e32 v41, 0, v49
	v_pk_add_f32 v[32:33], v[32:33], v[42:43]
	v_mfma_f32_16x16x32_f16 v[36:39], v[26:29], v[10:13], 0
	v_mul_f32_e32 v42, 0x3d92220c, v32
	v_fma_f32 v42, -v32, v42, s10
	v_mul_f32_e32 v42, v32, v42
	v_mul_f32_e32 v43, 0x3fb8aa3b, v42
	v_fma_f32 v44, v42, s11, -v43
	v_rndne_f32_e32 v45, v43
	v_fmac_f32_e32 v44, 0x32a5705f, v42
	v_sub_f32_e32 v43, v43, v45
	v_add_f32_e32 v43, v43, v44
	v_ldexp_f32 v41, v48, v41
	v_exp_f32_e32 v43, v43
	v_cvt_i32_f32_e32 v44, v45
	v_pk_mul_f32 v[30:31], v[30:31], v[40:41]
	v_mul_f32_e32 v40, 0x3d92220c, v33
	v_fma_f32 v40, -v33, v40, s10
	v_mul_f32_e32 v41, v33, v40
	v_mul_f32_e32 v40, 0x3fb8aa3b, v41
	v_cvt_pk_f16_f32 v30, v30, v31
	v_ldexp_f32 v31, v43, v44
	v_fma_f32 v43, v41, s11, -v40
	v_rndne_f32_e32 v44, v40
	v_fmac_f32_e32 v43, 0x32a5705f, v41
	v_sub_f32_e32 v40, v40, v44
	v_add_f32_e32 v40, v40, v43
	v_exp_f32_e32 v43, v40
	v_cvt_i32_f32_e32 v44, v44
	v_cmp_ngt_f32_e32 vcc, s8, v42
	v_mfma_f32_16x16x32_f16 v[26:29], v[26:29], v[2:5], 0
	s_nop 0
	v_cndmask_b32_e32 v31, 0, v31, vcc
	v_cmp_nlt_f32_e32 vcc, s9, v42
	s_nop 1
	v_cndmask_b32_e32 v40, v51, v31, vcc
	v_ldexp_f32 v31, v43, v44
	v_cmp_ngt_f32_e32 vcc, s8, v41
	s_nop 1
	v_cndmask_b32_e32 v31, 0, v31, vcc
	v_cmp_nlt_f32_e32 vcc, s9, v41
	s_nop 1
	v_cndmask_b32_e32 v41, v51, v31, vcc
	v_pk_add_f32 v[40:41], v[40:41], 1.0 op_sel_hi:[1,0]
	s_nop 0
	v_frexp_mant_f32_e32 v31, v40
	v_rcp_f32_e32 v31, v31
	v_frexp_mant_f32_e32 v42, v41
	v_frexp_exp_i32_f32_e32 v40, v40
	v_rcp_f32_e32 v42, v42
	v_sub_u32_e32 v40, 0, v40
	v_ldexp_f32 v40, v31, v40
	v_frexp_exp_i32_f32_e32 v31, v41
	v_sub_u32_e32 v31, 0, v31
	v_ldexp_f32 v41, v42, v31
	v_pk_mul_f32 v[32:33], v[32:33], v[40:41]
	s_nop 0
	v_cvt_pk_f16_f32 v31, v32, v33
	v_subrev_u32_e32 v32, 64, v47
	buffer_store_dwordx2 v[30:31], v32, s[0:3], 0 offen
	v_add_u32_e32 v30, 0xffffff80, v35
	s_waitcnt lgkmcnt(0)
	s_barrier
	ds_write2_b32 v53, v36, v37 offset1:32
	ds_write2_b32 v53, v38, v39 offset0:64 offset1:96
	s_waitcnt lgkmcnt(0)
	s_barrier
	buffer_load_dwordx2 v[36:37], v30, s[12:15], 0 offen
	v_add_u32_e32 v30, 0xffffff80, v46
	buffer_load_dwordx2 v[38:39], v30, s[4:7], 0 offen
	ds_read_b128 v[30:33], v54
	s_waitcnt vmcnt(1)
	v_cvt_f32_f16_e32 v40, v36
	v_cvt_f32_f16_sdwa v41, v36 dst_sel:DWORD dst_unused:UNUSED_PAD src0_sel:WORD_1
	s_waitcnt vmcnt(0)
	v_cvt_f32_f16_e32 v42, v38
	v_cvt_f32_f16_sdwa v43, v38 dst_sel:DWORD dst_unused:UNUSED_PAD src0_sel:WORD_1
	s_waitcnt lgkmcnt(0)
	v_pk_add_f32 v[30:31], v[30:31], v[40:41]
	s_nop 0
	v_pk_add_f32 v[30:31], v[30:31], v[42:43]
	s_nop 0
	v_mul_f32_e32 v35, 0x3d92220c, v30
	v_fma_f32 v35, -v30, v35, s10
	v_mul_f32_e32 v35, v30, v35
	v_mul_f32_e32 v36, 0x3fb8aa3b, v35
	v_fma_f32 v38, v35, s11, -v36
	v_rndne_f32_e32 v40, v36
	v_fmac_f32_e32 v38, 0x32a5705f, v35
	v_sub_f32_e32 v36, v36, v40
	v_add_f32_e32 v36, v36, v38
	v_exp_f32_e32 v36, v36
	v_cvt_i32_f32_e32 v38, v40
	v_cmp_ngt_f32_e32 vcc, s8, v35
	v_ldexp_f32 v36, v36, v38
	v_mul_f32_e32 v38, 0x3d92220c, v31
	v_fma_f32 v38, -v31, v38, s10
	v_mul_f32_e32 v38, v31, v38
	v_mul_f32_e32 v40, 0x3fb8aa3b, v38
	v_fma_f32 v41, v38, s11, -v40
	v_rndne_f32_e32 v42, v40
	v_fmac_f32_e32 v41, 0x32a5705f, v38
	v_sub_f32_e32 v40, v40, v42
	v_add_f32_e32 v40, v40, v41
	v_exp_f32_e32 v41, v40
	v_cvt_i32_f32_e32 v42, v42
	v_cndmask_b32_e32 v36, 0, v36, vcc
	v_cmp_nlt_f32_e32 vcc, s9, v35
	v_ldexp_f32 v35, v41, v42
	s_nop 0
	v_cndmask_b32_e32 v40, v51, v36, vcc
	v_cmp_ngt_f32_e32 vcc, s8, v38
	s_nop 1
	v_cndmask_b32_e32 v35, 0, v35, vcc
	v_cmp_nlt_f32_e32 vcc, s9, v38
	v_cvt_f32_f16_e32 v38, v39
	v_cvt_f32_f16_sdwa v39, v39 dst_sel:DWORD dst_unused:UNUSED_PAD src0_sel:WORD_1
	v_cndmask_b32_e32 v41, v51, v35, vcc
	v_pk_add_f32 v[40:41], v[40:41], 1.0 op_sel_hi:[1,0]
	s_nop 0
	v_frexp_mant_f32_e32 v35, v40
	v_rcp_f32_e32 v35, v35
	v_frexp_exp_i32_f32_e32 v36, v40
	v_sub_u32_e32 v36, 0, v36
	v_frexp_exp_i32_f32_e32 v42, v41
	v_ldexp_f32 v36, v35, v36
	v_frexp_mant_f32_e32 v35, v41
	v_cvt_f32_f16_e32 v40, v37
	v_cvt_f32_f16_sdwa v41, v37 dst_sel:DWORD dst_unused:UNUSED_PAD src0_sel:WORD_1
	v_rcp_f32_e32 v35, v35
	v_sub_u32_e32 v37, 0, v42
	v_pk_add_f32 v[32:33], v[32:33], v[40:41]
	s_nop 0
	v_pk_add_f32 v[32:33], v[32:33], v[38:39]
	v_ldexp_f32 v37, v35, v37
	v_mul_f32_e32 v38, 0x3d92220c, v32
	v_fma_f32 v38, -v32, v38, s10
	v_mul_f32_e32 v38, v32, v38
	v_mul_f32_e32 v39, 0x3fb8aa3b, v38
	v_fma_f32 v40, v38, s11, -v39
	v_rndne_f32_e32 v41, v39
	v_fmac_f32_e32 v40, 0x32a5705f, v38
	v_sub_f32_e32 v39, v39, v41
	v_add_f32_e32 v39, v39, v40
	v_exp_f32_e32 v39, v39
	v_cvt_i32_f32_e32 v40, v41
	v_mul_f32_e32 v35, 0x3d92220c, v33
	v_fma_f32 v35, -v33, v35, s10
	v_mul_f32_e32 v35, v33, v35
	v_pk_mul_f32 v[30:31], v[30:31], v[36:37]
	v_mul_f32_e32 v36, 0x3fb8aa3b, v35
	v_cvt_pk_f16_f32 v30, v30, v31
	v_ldexp_f32 v31, v39, v40
	v_fma_f32 v37, v35, s11, -v36
	v_rndne_f32_e32 v39, v36
	v_fmac_f32_e32 v37, 0x32a5705f, v35
	v_sub_f32_e32 v36, v36, v39
	v_add_f32_e32 v36, v36, v37
	v_exp_f32_e32 v37, v36
	v_cvt_i32_f32_e32 v39, v39
	v_cmp_ngt_f32_e32 vcc, s8, v38
	v_add_u32_e32 v40, s18, v0
	v_add_u32_e32 v41, s17, v1
	v_cndmask_b32_e32 v31, 0, v31, vcc
	v_cmp_nlt_f32_e32 vcc, s9, v38
	v_lshlrev_b32_e32 v0, 1, v40
	s_nop 0
	v_cndmask_b32_e32 v36, v51, v31, vcc
	v_ldexp_f32 v31, v37, v39
	v_cmp_ngt_f32_e32 vcc, s8, v35
	s_nop 1
	v_cndmask_b32_e32 v31, 0, v31, vcc
	v_cmp_nlt_f32_e32 vcc, s9, v35
	s_nop 1
	v_cndmask_b32_e32 v37, v51, v31, vcc
	v_pk_add_f32 v[36:37], v[36:37], 1.0 op_sel_hi:[1,0]
	s_nop 0
	v_frexp_mant_f32_e32 v31, v36
	v_rcp_f32_e32 v31, v31
	v_frexp_exp_i32_f32_e32 v35, v36
	v_frexp_mant_f32_e32 v36, v37
	v_rcp_f32_e32 v38, v36
	v_sub_u32_e32 v35, 0, v35
	v_ldexp_f32 v36, v31, v35
	v_frexp_exp_i32_f32_e32 v31, v37
	v_sub_u32_e32 v31, 0, v31
	v_ldexp_f32 v37, v38, v31
	v_pk_mul_f32 v[32:33], v[32:33], v[36:37]
	s_nop 0
	v_cvt_pk_f16_f32 v31, v32, v33
	v_add_u32_e32 v32, 0xffffff80, v47
	buffer_store_dwordx2 v[30:31], v32, s[0:3], 0 offen
	s_waitcnt lgkmcnt(0)
	s_barrier
	ds_write2_b32 v53, v26, v27 offset1:32
	ds_write2_b32 v53, v28, v29 offset0:64 offset1:96
	s_waitcnt lgkmcnt(0)
	s_barrier
	buffer_load_dwordx2 v[0:1], v0, s[12:15], 0 offen
	v_lshlrev_b32_e32 v26, 1, v41
	buffer_load_dwordx2 v[36:37], v26, s[4:7], 0 offen
	ds_read_b128 v[26:29], v54
	s_waitcnt vmcnt(1)
	v_cvt_f32_f16_e32 v30, v0
	v_cvt_f32_f16_sdwa v31, v0 dst_sel:DWORD dst_unused:UNUSED_PAD src0_sel:WORD_1
	s_waitcnt vmcnt(0)
	v_cvt_f32_f16_e32 v32, v36
	v_cvt_f32_f16_sdwa v33, v36 dst_sel:DWORD dst_unused:UNUSED_PAD src0_sel:WORD_1
	s_waitcnt lgkmcnt(0)
	v_pk_add_f32 v[26:27], v[26:27], v[30:31]
	s_nop 0
	v_pk_add_f32 v[26:27], v[26:27], v[32:33]
	s_nop 0
	v_mul_f32_e32 v0, 0x3d92220c, v26
	v_fma_f32 v0, -v26, v0, s10
	v_mul_f32_e32 v0, v26, v0
	v_mul_f32_e32 v30, 0x3fb8aa3b, v0
	v_fma_f32 v31, v0, s11, -v30
	v_rndne_f32_e32 v32, v30
	v_fmac_f32_e32 v31, 0x32a5705f, v0
	v_sub_f32_e32 v30, v30, v32
	v_add_f32_e32 v30, v30, v31
	v_exp_f32_e32 v35, v30
	v_cvt_i32_f32_e32 v36, v32
	v_cmp_ngt_f32_e32 vcc, s8, v0
	v_mfma_f32_16x16x32_f16 v[30:33], v[22:25], v[2:5], 0
	v_ldexp_f32 v35, v35, v36
	v_mul_f32_e32 v36, 0x3d92220c, v27
	v_fma_f32 v36, -v27, v36, s10
	v_mul_f32_e32 v36, v27, v36
	v_mul_f32_e32 v38, 0x3fb8aa3b, v36
	v_fma_f32 v39, v36, s11, -v38
	v_rndne_f32_e32 v42, v38
	v_fmac_f32_e32 v39, 0x32a5705f, v36
	v_sub_f32_e32 v38, v38, v42
	v_add_f32_e32 v38, v38, v39
	v_exp_f32_e32 v39, v38
	v_cvt_i32_f32_e32 v42, v42
	v_cndmask_b32_e32 v35, 0, v35, vcc
	v_cmp_nlt_f32_e32 vcc, s9, v0
	v_mfma_f32_16x16x32_f16 v[2:5], v[6:9], v[2:5], 0
	v_ldexp_f32 v0, v39, v42
	v_cndmask_b32_e32 v38, v51, v35, vcc
	v_cmp_ngt_f32_e32 vcc, s8, v36
	v_add_u32_e32 v42, s16, v34
	v_cvt_f32_f16_sdwa v35, v1 dst_sel:DWORD dst_unused:UNUSED_PAD src0_sel:WORD_1
	v_cndmask_b32_e32 v0, 0, v0, vcc
	v_cmp_nlt_f32_e32 vcc, s9, v36
	v_cvt_f32_f16_e32 v36, v37
	v_cvt_f32_f16_sdwa v37, v37 dst_sel:DWORD dst_unused:UNUSED_PAD src0_sel:WORD_1
	v_cndmask_b32_e32 v39, v51, v0, vcc
	v_pk_add_f32 v[38:39], v[38:39], 1.0 op_sel_hi:[1,0]
	s_nop 0
	v_frexp_mant_f32_e32 v0, v38
	v_rcp_f32_e32 v0, v0
	v_frexp_exp_i32_f32_e32 v34, v38
	v_sub_u32_e32 v34, 0, v34
	v_frexp_mant_f32_e32 v38, v39
	v_ldexp_f32 v0, v0, v34
	v_cvt_f32_f16_e32 v34, v1
	v_rcp_f32_e32 v38, v38
	v_frexp_exp_i32_f32_e32 v39, v39
	v_sub_u32_e32 v1, 0, v39
	v_pk_add_f32 v[28:29], v[28:29], v[34:35]
	v_ldexp_f32 v1, v38, v1
	v_pk_add_f32 v[28:29], v[28:29], v[36:37]
	v_pk_mul_f32 v[0:1], v[26:27], v[0:1]
	v_mul_f32_e32 v34, 0x3d92220c, v28
	v_fma_f32 v34, -v28, v34, s10
	v_mul_f32_e32 v34, v28, v34
	v_mul_f32_e32 v35, 0x3fb8aa3b, v34
	v_fma_f32 v36, v34, s11, -v35
	v_rndne_f32_e32 v37, v35
	v_fmac_f32_e32 v36, 0x32a5705f, v34
	v_sub_f32_e32 v35, v35, v37
	v_add_f32_e32 v35, v35, v36
	v_exp_f32_e32 v35, v35
	v_cvt_i32_f32_e32 v36, v37
	v_mul_f32_e32 v26, 0x3d92220c, v29
	v_fma_f32 v26, -v29, v26, s10
	v_mul_f32_e32 v27, v29, v26
	v_mul_f32_e32 v26, 0x3fb8aa3b, v27
	v_cvt_pk_f16_f32 v0, v0, v1
	v_ldexp_f32 v1, v35, v36
	v_fma_f32 v35, v27, s11, -v26
	v_rndne_f32_e32 v36, v26
	v_fmac_f32_e32 v35, 0x32a5705f, v27
	v_sub_f32_e32 v26, v26, v36
	v_add_f32_e32 v26, v26, v35
	v_exp_f32_e32 v35, v26
	v_cvt_i32_f32_e32 v36, v36
	v_cmp_ngt_f32_e32 vcc, s8, v34
	s_nop 1
	v_cndmask_b32_e32 v1, 0, v1, vcc
	v_cmp_nlt_f32_e32 vcc, s9, v34
	s_nop 1
	v_cndmask_b32_e32 v26, v51, v1, vcc
	v_ldexp_f32 v1, v35, v36
	v_cmp_ngt_f32_e32 vcc, s8, v27
	s_nop 1
	v_cndmask_b32_e32 v1, 0, v1, vcc
	v_cmp_nlt_f32_e32 vcc, s9, v27
	s_nop 1
	v_cndmask_b32_e32 v27, v51, v1, vcc
	v_pk_add_f32 v[26:27], v[26:27], 1.0 op_sel_hi:[1,0]
	s_nop 0
	v_frexp_mant_f32_e32 v1, v26
	v_rcp_f32_e32 v1, v1
	v_frexp_mant_f32_e32 v34, v27
	v_frexp_exp_i32_f32_e32 v26, v26
	v_rcp_f32_e32 v34, v34
	v_sub_u32_e32 v26, 0, v26
	v_ldexp_f32 v26, v1, v26
	v_frexp_exp_i32_f32_e32 v1, v27
	v_sub_u32_e32 v1, 0, v1
	v_ldexp_f32 v27, v34, v1
	v_pk_mul_f32 v[26:27], v[28:29], v[26:27]
	s_nop 0
	v_cvt_pk_f16_f32 v1, v26, v27
	v_lshlrev_b32_e32 v26, 1, v42
	buffer_store_dwordx2 v[0:1], v26, s[0:3], 0 offen
	v_add_u32_e32 v26, s18, v40
	v_add_u32_e32 v1, s17, v41
	v_lshlrev_b32_e32 v27, 1, v26
	s_waitcnt lgkmcnt(0)
	s_barrier
	ds_write2_b32 v53, v30, v31 offset1:32
	ds_write2_b32 v53, v32, v33 offset0:64 offset1:96
	s_waitcnt lgkmcnt(0)
	s_barrier
	buffer_load_dwordx2 v[36:37], v27, s[12:15], 0 offen
	v_lshlrev_b32_e32 v43, 1, v1
	buffer_load_dwordx2 v[38:39], v43, s[4:7], 0 offen
	ds_read_b128 v[28:31], v54
	s_waitcnt vmcnt(1)
	v_cvt_f32_f16_e32 v32, v36
	v_cvt_f32_f16_sdwa v33, v36 dst_sel:DWORD dst_unused:UNUSED_PAD src0_sel:WORD_1
	s_waitcnt vmcnt(0)
	v_cvt_f32_f16_e32 v34, v38
	v_cvt_f32_f16_sdwa v35, v38 dst_sel:DWORD dst_unused:UNUSED_PAD src0_sel:WORD_1
	s_waitcnt lgkmcnt(0)
	v_pk_add_f32 v[28:29], v[28:29], v[32:33]
	s_nop 0
	v_pk_add_f32 v[28:29], v[28:29], v[34:35]
	s_nop 0
	v_mul_f32_e32 v0, 0x3d92220c, v28
	v_fma_f32 v0, -v28, v0, s10
	v_mul_f32_e32 v0, v28, v0
	v_mul_f32_e32 v32, 0x3fb8aa3b, v0
	v_fma_f32 v33, v0, s11, -v32
	v_rndne_f32_e32 v34, v32
	v_fmac_f32_e32 v33, 0x32a5705f, v0
	v_sub_f32_e32 v32, v32, v34
	v_add_f32_e32 v32, v32, v33
	v_exp_f32_e32 v36, v32
	v_cvt_i32_f32_e32 v38, v34
	v_cmp_ngt_f32_e32 vcc, s8, v0
	v_mfma_f32_16x16x32_f16 v[32:35], v[22:25], v[10:13], 0
	v_ldexp_f32 v36, v36, v38
	v_mul_f32_e32 v38, 0x3d92220c, v29
	v_fma_f32 v38, -v29, v38, s10
	v_mul_f32_e32 v38, v29, v38
	v_mul_f32_e32 v40, 0x3fb8aa3b, v38
	v_fma_f32 v41, v38, s11, -v40
	v_rndne_f32_e32 v44, v40
	v_fmac_f32_e32 v41, 0x32a5705f, v38
	v_sub_f32_e32 v40, v40, v44
	v_add_f32_e32 v40, v40, v41
	v_exp_f32_e32 v41, v40
	v_cvt_i32_f32_e32 v44, v44
	v_cndmask_b32_e32 v36, 0, v36, vcc
	v_cmp_nlt_f32_e32 vcc, s9, v0
	v_mfma_f32_16x16x32_f16 v[10:13], v[6:9], v[10:13], 0
	v_ldexp_f32 v0, v41, v44
	v_cndmask_b32_e32 v40, v51, v36, vcc
	v_cmp_ngt_f32_e32 vcc, s8, v38
	s_nop 1
	v_cndmask_b32_e32 v0, 0, v0, vcc
	v_cmp_nlt_f32_e32 vcc, s9, v38
	s_nop 1
	v_cndmask_b32_e32 v41, v51, v0, vcc
	v_pk_add_f32 v[40:41], v[40:41], 1.0 op_sel_hi:[1,0]
	s_nop 0
	v_frexp_mant_f32_e32 v0, v40
	v_rcp_f32_e32 v36, v0
	v_frexp_exp_i32_f32_e32 v38, v40
	v_add_u32_e32 v0, s16, v42
	v_sub_u32_e32 v38, 0, v38
	v_frexp_mant_f32_e32 v42, v41
	v_frexp_exp_i32_f32_e32 v44, v41
	v_cvt_f32_f16_e32 v40, v37
	v_cvt_f32_f16_sdwa v41, v37 dst_sel:DWORD dst_unused:UNUSED_PAD src0_sel:WORD_1
	v_ldexp_f32 v36, v36, v38
	v_cvt_f32_f16_e32 v38, v39
	v_cvt_f32_f16_sdwa v39, v39 dst_sel:DWORD dst_unused:UNUSED_PAD src0_sel:WORD_1
	v_pk_add_f32 v[30:31], v[30:31], v[40:41]
	v_rcp_f32_e32 v42, v42
	v_sub_u32_e32 v37, 0, v44
	v_pk_add_f32 v[30:31], v[30:31], v[38:39]
	v_ldexp_f32 v37, v42, v37
	v_mul_f32_e32 v38, 0x3d92220c, v30
	v_fma_f32 v38, -v30, v38, s10
	v_mul_f32_e32 v38, v30, v38
	v_mul_f32_e32 v39, 0x3fb8aa3b, v38
	v_fma_f32 v40, v38, s11, -v39
	v_rndne_f32_e32 v41, v39
	v_fmac_f32_e32 v40, 0x32a5705f, v38
	v_sub_f32_e32 v39, v39, v41
	v_add_f32_e32 v39, v39, v40
	v_exp_f32_e32 v39, v39
	v_cvt_i32_f32_e32 v40, v41
	v_pk_mul_f32 v[28:29], v[28:29], v[36:37]
	v_mul_f32_e32 v36, 0x3d92220c, v31
	v_fma_f32 v36, -v31, v36, s10
	v_mul_f32_e32 v37, v31, v36
	v_mul_f32_e32 v36, 0x3fb8aa3b, v37
	v_cvt_pk_f16_f32 v28, v28, v29
	v_ldexp_f32 v29, v39, v40
	v_fma_f32 v39, v37, s11, -v36
	v_rndne_f32_e32 v40, v36
	v_fmac_f32_e32 v39, 0x32a5705f, v37
	v_sub_f32_e32 v36, v36, v40
	v_add_f32_e32 v36, v36, v39
	v_exp_f32_e32 v39, v36
	v_cvt_i32_f32_e32 v40, v40
	v_cmp_ngt_f32_e32 vcc, s8, v38
	v_lshlrev_b32_e32 v42, 1, v0
	s_nop 0
	v_cndmask_b32_e32 v29, 0, v29, vcc
	v_cmp_nlt_f32_e32 vcc, s9, v38
	s_nop 1
	v_cndmask_b32_e32 v36, v51, v29, vcc
	v_ldexp_f32 v29, v39, v40
	v_cmp_ngt_f32_e32 vcc, s8, v37
	s_nop 1
	v_cndmask_b32_e32 v29, 0, v29, vcc
	v_cmp_nlt_f32_e32 vcc, s9, v37
	s_nop 1
	v_cndmask_b32_e32 v37, v51, v29, vcc
	v_pk_add_f32 v[36:37], v[36:37], 1.0 op_sel_hi:[1,0]
	s_nop 0
	v_frexp_mant_f32_e32 v29, v36
	v_rcp_f32_e32 v29, v29
	v_frexp_mant_f32_e32 v38, v37
	v_frexp_exp_i32_f32_e32 v36, v36
	v_rcp_f32_e32 v38, v38
	v_sub_u32_e32 v36, 0, v36
	v_ldexp_f32 v36, v29, v36
	v_frexp_exp_i32_f32_e32 v29, v37
	v_sub_u32_e32 v29, 0, v29
	v_ldexp_f32 v37, v38, v29
	v_pk_mul_f32 v[30:31], v[30:31], v[36:37]
	s_nop 0
	v_cvt_pk_f16_f32 v29, v30, v31
	buffer_store_dwordx2 v[28:29], v42, s[0:3], 0 offen
	s_waitcnt lgkmcnt(0)
	s_barrier
	ds_write2_b32 v53, v32, v33 offset1:32
	ds_write2_b32 v53, v34, v35 offset0:64 offset1:96
	s_waitcnt lgkmcnt(0)
	s_barrier
	buffer_load_dwordx2 v[36:37], v27, s[12:15], 0 offen offset:64
	buffer_load_dwordx2 v[38:39], v43, s[4:7], 0 offen offset:64
	ds_read_b128 v[28:31], v54
	s_waitcnt vmcnt(1)
	v_cvt_f32_f16_e32 v32, v36
	v_cvt_f32_f16_sdwa v33, v36 dst_sel:DWORD dst_unused:UNUSED_PAD src0_sel:WORD_1
	s_waitcnt vmcnt(0)
	v_cvt_f32_f16_e32 v34, v38
	v_cvt_f32_f16_sdwa v35, v38 dst_sel:DWORD dst_unused:UNUSED_PAD src0_sel:WORD_1
	s_waitcnt lgkmcnt(0)
	v_pk_add_f32 v[28:29], v[28:29], v[32:33]
	s_nop 0
	v_pk_add_f32 v[28:29], v[28:29], v[34:35]
	s_nop 0
	v_mul_f32_e32 v32, 0x3d92220c, v28
	v_fma_f32 v32, -v28, v32, s10
	v_mul_f32_e32 v32, v28, v32
	v_mul_f32_e32 v33, 0x3fb8aa3b, v32
	v_fma_f32 v34, v32, s11, -v33
	v_rndne_f32_e32 v35, v33
	v_fmac_f32_e32 v34, 0x32a5705f, v32
	v_sub_f32_e32 v33, v33, v35
	v_add_f32_e32 v33, v33, v34
	v_exp_f32_e32 v33, v33
	v_cvt_i32_f32_e32 v34, v35
	v_cmp_ngt_f32_e32 vcc, s8, v32
	v_ldexp_f32 v33, v33, v34
	v_mul_f32_e32 v34, 0x3d92220c, v29
	v_fma_f32 v34, -v29, v34, s10
	v_mul_f32_e32 v34, v29, v34
	v_mul_f32_e32 v35, 0x3fb8aa3b, v34
	v_fma_f32 v36, v34, s11, -v35
	v_rndne_f32_e32 v38, v35
	v_fmac_f32_e32 v36, 0x32a5705f, v34
	v_sub_f32_e32 v35, v35, v38
	v_add_f32_e32 v35, v35, v36
	v_exp_f32_e32 v35, v35
	v_cvt_i32_f32_e32 v36, v38
	v_cndmask_b32_e32 v33, 0, v33, vcc
	v_cmp_nlt_f32_e32 vcc, s9, v32
	s_nop 1
	v_cndmask_b32_e32 v32, v51, v33, vcc
	v_ldexp_f32 v33, v35, v36
	v_cmp_ngt_f32_e32 vcc, s8, v34
	s_nop 1
	v_cndmask_b32_e32 v33, 0, v33, vcc
	v_cmp_nlt_f32_e32 vcc, s9, v34
	s_nop 1
	v_cndmask_b32_e32 v33, v51, v33, vcc
	v_pk_add_f32 v[40:41], v[32:33], 1.0 op_sel_hi:[1,0]
	s_nop 0
	v_frexp_mant_f32_e32 v32, v40
	v_rcp_f32_e32 v36, v32
	v_frexp_exp_i32_f32_e32 v38, v40
	v_sub_u32_e32 v38, 0, v38
	v_frexp_mant_f32_e32 v44, v41
	v_frexp_exp_i32_f32_e32 v45, v41
	v_cvt_f32_f16_e32 v40, v37
	v_cvt_f32_f16_sdwa v41, v37 dst_sel:DWORD dst_unused:UNUSED_PAD src0_sel:WORD_1
	v_ldexp_f32 v36, v36, v38
	v_cvt_f32_f16_e32 v38, v39
	v_cvt_f32_f16_sdwa v39, v39 dst_sel:DWORD dst_unused:UNUSED_PAD src0_sel:WORD_1
	v_pk_add_f32 v[30:31], v[30:31], v[40:41]
	v_rcp_f32_e32 v44, v44
	v_sub_u32_e32 v37, 0, v45
	v_pk_add_f32 v[30:31], v[30:31], v[38:39]
	v_mfma_f32_16x16x32_f16 v[32:35], v[22:25], v[14:17], 0
	v_mul_f32_e32 v38, 0x3d92220c, v30
	v_fma_f32 v38, -v30, v38, s10
	v_mul_f32_e32 v38, v30, v38
	v_mul_f32_e32 v39, 0x3fb8aa3b, v38
	v_fma_f32 v40, v38, s11, -v39
	v_rndne_f32_e32 v41, v39
	v_fmac_f32_e32 v40, 0x32a5705f, v38
	v_sub_f32_e32 v39, v39, v41
	v_add_f32_e32 v39, v39, v40
	v_ldexp_f32 v37, v44, v37
	v_exp_f32_e32 v39, v39
	v_cvt_i32_f32_e32 v40, v41
	v_pk_mul_f32 v[28:29], v[28:29], v[36:37]
	v_mul_f32_e32 v36, 0x3d92220c, v31
	v_fma_f32 v36, -v31, v36, s10
	v_mul_f32_e32 v37, v31, v36
	v_mul_f32_e32 v36, 0x3fb8aa3b, v37
	v_cvt_pk_f16_f32 v28, v28, v29
	v_ldexp_f32 v29, v39, v40
	v_fma_f32 v39, v37, s11, -v36
	v_rndne_f32_e32 v40, v36
	v_fmac_f32_e32 v39, 0x32a5705f, v37
	v_sub_f32_e32 v36, v36, v40
	v_add_f32_e32 v36, v36, v39
	v_exp_f32_e32 v39, v36
	v_cvt_i32_f32_e32 v40, v40
	v_cmp_ngt_f32_e32 vcc, s8, v38
	v_mfma_f32_16x16x32_f16 v[22:25], v[22:25], v[18:21], 0
	s_nop 0
	v_cndmask_b32_e32 v29, 0, v29, vcc
	v_cmp_nlt_f32_e32 vcc, s9, v38
	v_mfma_f32_16x16x32_f16 v[18:21], v[6:9], v[18:21], 0
	s_nop 0
	v_cndmask_b32_e32 v36, v51, v29, vcc
	v_ldexp_f32 v29, v39, v40
	v_cmp_ngt_f32_e32 vcc, s8, v37
	v_mfma_f32_16x16x32_f16 v[14:17], v[6:9], v[14:17], 0
	s_nop 0
	v_cndmask_b32_e32 v29, 0, v29, vcc
	v_cmp_nlt_f32_e32 vcc, s9, v37
	s_nop 1
	v_cndmask_b32_e32 v37, v51, v29, vcc
	v_pk_add_f32 v[36:37], v[36:37], 1.0 op_sel_hi:[1,0]
	s_nop 0
	v_frexp_mant_f32_e32 v29, v36
	v_rcp_f32_e32 v29, v29
	v_frexp_mant_f32_e32 v38, v37
	v_frexp_exp_i32_f32_e32 v36, v36
	v_rcp_f32_e32 v38, v38
	v_sub_u32_e32 v36, 0, v36
	v_ldexp_f32 v36, v29, v36
	v_frexp_exp_i32_f32_e32 v29, v37
	v_sub_u32_e32 v29, 0, v29
	v_ldexp_f32 v37, v38, v29
	v_pk_mul_f32 v[30:31], v[30:31], v[36:37]
	s_nop 0
	v_cvt_pk_f16_f32 v29, v30, v31
	buffer_store_dwordx2 v[28:29], v42, s[0:3], 0 offen offset:64
	s_waitcnt lgkmcnt(0)
	s_barrier
	ds_write2_b32 v53, v32, v33 offset1:32
	ds_write2_b32 v53, v34, v35 offset0:64 offset1:96
	s_waitcnt lgkmcnt(0)
	s_barrier
	buffer_load_dwordx2 v[32:33], v27, s[12:15], 0 offen offset:128
	buffer_load_dwordx2 v[34:35], v43, s[4:7], 0 offen offset:128
	ds_read_b128 v[28:31], v54
	s_waitcnt vmcnt(1)
	v_cvt_f32_f16_e32 v36, v32
	v_cvt_f32_f16_sdwa v37, v32 dst_sel:DWORD dst_unused:UNUSED_PAD src0_sel:WORD_1
	s_waitcnt vmcnt(0)
	v_cvt_f32_f16_e32 v38, v34
	v_cvt_f32_f16_sdwa v39, v34 dst_sel:DWORD dst_unused:UNUSED_PAD src0_sel:WORD_1
	s_waitcnt lgkmcnt(0)
	v_pk_add_f32 v[28:29], v[28:29], v[36:37]
	s_nop 0
	v_pk_add_f32 v[28:29], v[28:29], v[38:39]
	s_nop 0
	v_mul_f32_e32 v27, 0x3d92220c, v28
	v_fma_f32 v27, -v28, v27, s10
	v_mul_f32_e32 v27, v28, v27
	v_mul_f32_e32 v32, 0x3fb8aa3b, v27
	v_fma_f32 v34, v27, s11, -v32
	v_rndne_f32_e32 v36, v32
	v_fmac_f32_e32 v34, 0x32a5705f, v27
	v_sub_f32_e32 v32, v32, v36
	v_add_f32_e32 v32, v32, v34
	v_exp_f32_e32 v32, v32
	v_cvt_i32_f32_e32 v34, v36
	v_cmp_ngt_f32_e32 vcc, s8, v27
	v_ldexp_f32 v32, v32, v34
	v_mul_f32_e32 v34, 0x3d92220c, v29
	v_fma_f32 v34, -v29, v34, s10
	v_mul_f32_e32 v34, v29, v34
	v_mul_f32_e32 v36, 0x3fb8aa3b, v34
	v_fma_f32 v37, v34, s11, -v36
	v_rndne_f32_e32 v38, v36
	v_fmac_f32_e32 v37, 0x32a5705f, v34
	v_sub_f32_e32 v36, v36, v38
	v_add_f32_e32 v36, v36, v37
	v_exp_f32_e32 v37, v36
	v_cvt_i32_f32_e32 v38, v38
	v_cndmask_b32_e32 v32, 0, v32, vcc
	v_cmp_nlt_f32_e32 vcc, s9, v27
	v_ldexp_f32 v27, v37, v38
	s_nop 0
	v_cndmask_b32_e32 v36, v51, v32, vcc
	v_cmp_ngt_f32_e32 vcc, s8, v34
	s_nop 1
	v_cndmask_b32_e32 v27, 0, v27, vcc
	v_cmp_nlt_f32_e32 vcc, s9, v34
	v_cvt_f32_f16_e32 v34, v35
	v_cvt_f32_f16_sdwa v35, v35 dst_sel:DWORD dst_unused:UNUSED_PAD src0_sel:WORD_1
	v_cndmask_b32_e32 v37, v51, v27, vcc
	v_pk_add_f32 v[36:37], v[36:37], 1.0 op_sel_hi:[1,0]
	s_nop 0
	v_frexp_mant_f32_e32 v27, v36
	v_rcp_f32_e32 v27, v27
	v_frexp_exp_i32_f32_e32 v32, v36
	v_sub_u32_e32 v32, 0, v32
	v_frexp_exp_i32_f32_e32 v38, v37
	v_ldexp_f32 v32, v27, v32
	v_frexp_mant_f32_e32 v27, v37
	v_cvt_f32_f16_e32 v36, v33
	v_cvt_f32_f16_sdwa v37, v33 dst_sel:DWORD dst_unused:UNUSED_PAD src0_sel:WORD_1
	v_rcp_f32_e32 v27, v27
	v_sub_u32_e32 v33, 0, v38
	v_pk_add_f32 v[30:31], v[30:31], v[36:37]
	s_nop 0
	v_pk_add_f32 v[30:31], v[30:31], v[34:35]
	v_ldexp_f32 v33, v27, v33
	v_mul_f32_e32 v34, 0x3d92220c, v30
	v_fma_f32 v34, -v30, v34, s10
	v_mul_f32_e32 v34, v30, v34
	v_mul_f32_e32 v35, 0x3fb8aa3b, v34
	v_fma_f32 v36, v34, s11, -v35
	v_rndne_f32_e32 v37, v35
	v_fmac_f32_e32 v36, 0x32a5705f, v34
	v_sub_f32_e32 v35, v35, v37
	v_add_f32_e32 v35, v35, v36
	v_pk_mul_f32 v[28:29], v[28:29], v[32:33]
	v_exp_f32_e32 v35, v35
	v_cvt_i32_f32_e32 v36, v37
	v_cvt_pk_f16_f32 v28, v28, v29
	v_mul_f32_e32 v29, 0x3d92220c, v31
	v_fma_f32 v29, -v31, v29, s10
	v_mul_f32_e32 v29, v31, v29
	v_mul_f32_e32 v32, 0x3fb8aa3b, v29
	v_ldexp_f32 v27, v35, v36
	v_fma_f32 v33, v29, s11, -v32
	v_rndne_f32_e32 v35, v32
	v_fmac_f32_e32 v33, 0x32a5705f, v29
	v_sub_f32_e32 v32, v32, v35
	v_add_f32_e32 v32, v32, v33
	v_exp_f32_e32 v33, v32
	v_cvt_i32_f32_e32 v35, v35
	v_cmp_ngt_f32_e32 vcc, s8, v34
	v_add_u32_e32 v36, 0x60, v1
	v_add_lshl_u32 v1, v1, s17, 1
	v_cndmask_b32_e32 v27, 0, v27, vcc
	v_cmp_nlt_f32_e32 vcc, s9, v34
	s_nop 1
	v_cndmask_b32_e32 v32, v51, v27, vcc
	v_ldexp_f32 v27, v33, v35
	v_cmp_ngt_f32_e32 vcc, s8, v29
	s_nop 1
	v_cndmask_b32_e32 v27, 0, v27, vcc
	v_cmp_nlt_f32_e32 vcc, s9, v29
	s_nop 1
	v_cndmask_b32_e32 v33, v51, v27, vcc
	v_pk_add_f32 v[32:33], v[32:33], 1.0 op_sel_hi:[1,0]
	s_nop 0
	v_frexp_mant_f32_e32 v27, v32
	v_rcp_f32_e32 v27, v27
	v_frexp_exp_i32_f32_e32 v29, v32
	v_frexp_mant_f32_e32 v32, v33
	v_rcp_f32_e32 v34, v32
	v_sub_u32_e32 v29, 0, v29
	v_ldexp_f32 v32, v27, v29
	v_frexp_exp_i32_f32_e32 v27, v33
	v_sub_u32_e32 v27, 0, v27
	v_ldexp_f32 v33, v34, v27
	v_pk_mul_f32 v[30:31], v[30:31], v[32:33]
	v_add_u32_e32 v27, 0x60, v26
	v_cvt_pk_f16_f32 v29, v30, v31
	buffer_store_dwordx2 v[28:29], v42, s[0:3], 0 offen offset:128
	s_waitcnt lgkmcnt(0)
	s_barrier
	ds_write2_b32 v53, v22, v23 offset1:32
	ds_write2_b32 v53, v24, v25 offset0:64 offset1:96
	v_lshlrev_b32_e32 v22, 1, v27
	s_waitcnt lgkmcnt(0)
	s_barrier
	buffer_load_dwordx2 v[28:29], v22, s[12:15], 0 offen
	v_lshlrev_b32_e32 v22, 1, v36
	buffer_load_dwordx2 v[30:31], v22, s[4:7], 0 offen
	ds_read_b128 v[22:25], v54
	v_add_lshl_u32 v27, v27, s18, 1
	s_waitcnt vmcnt(1)
	v_cvt_f32_f16_e32 v32, v28
	v_cvt_f32_f16_sdwa v33, v28 dst_sel:DWORD dst_unused:UNUSED_PAD src0_sel:WORD_1
	s_waitcnt vmcnt(0)
	v_cvt_f32_f16_e32 v34, v30
	v_cvt_f32_f16_sdwa v35, v30 dst_sel:DWORD dst_unused:UNUSED_PAD src0_sel:WORD_1
	s_waitcnt lgkmcnt(0)
	v_pk_add_f32 v[22:23], v[22:23], v[32:33]
	s_nop 0
	v_pk_add_f32 v[22:23], v[22:23], v[34:35]
	s_nop 0
	v_mul_f32_e32 v28, 0x3d92220c, v22
	v_fma_f32 v28, -v22, v28, s10
	v_mul_f32_e32 v28, v22, v28
	v_mul_f32_e32 v30, 0x3fb8aa3b, v28
	v_fma_f32 v32, v28, s11, -v30
	v_rndne_f32_e32 v33, v30
	v_fmac_f32_e32 v32, 0x32a5705f, v28
	v_sub_f32_e32 v30, v30, v33
	v_add_f32_e32 v30, v30, v32
	v_exp_f32_e32 v30, v30
	v_cvt_i32_f32_e32 v32, v33
	v_cmp_ngt_f32_e32 vcc, s8, v28
	v_ldexp_f32 v30, v30, v32
	v_mul_f32_e32 v32, 0x3d92220c, v23
	v_fma_f32 v32, -v23, v32, s10
	v_mul_f32_e32 v33, v23, v32
	v_mul_f32_e32 v32, 0x3fb8aa3b, v33
	v_fma_f32 v34, v33, s11, -v32
	v_rndne_f32_e32 v35, v32
	v_fmac_f32_e32 v34, 0x32a5705f, v33
	v_sub_f32_e32 v32, v32, v35
	v_add_f32_e32 v32, v32, v34
	v_exp_f32_e32 v34, v32
	v_cvt_i32_f32_e32 v35, v35
	v_cndmask_b32_e32 v30, 0, v30, vcc
	v_cmp_nlt_f32_e32 vcc, s9, v28
	v_ldexp_f32 v28, v34, v35
	s_nop 0
	v_cndmask_b32_e32 v32, v51, v30, vcc
	v_cmp_ngt_f32_e32 vcc, s8, v33
	v_add_u32_e32 v34, 0x60, v0
	v_add_lshl_u32 v0, v0, s16, 1
	v_cndmask_b32_e32 v28, 0, v28, vcc
	v_cmp_nlt_f32_e32 vcc, s9, v33
	s_nop 1
	v_cndmask_b32_e32 v33, v51, v28, vcc
	v_pk_add_f32 v[32:33], v[32:33], 1.0 op_sel_hi:[1,0]
	s_nop 0
	v_frexp_mant_f32_e32 v28, v32
	v_rcp_f32_e32 v28, v28
	v_frexp_exp_i32_f32_e32 v30, v32
	v_sub_u32_e32 v30, 0, v30
	v_frexp_mant_f32_e32 v35, v33
	v_frexp_exp_i32_f32_e32 v37, v33
	v_cvt_f32_f16_e32 v32, v29
	v_cvt_f32_f16_sdwa v33, v29 dst_sel:DWORD dst_unused:UNUSED_PAD src0_sel:WORD_1
	v_ldexp_f32 v28, v28, v30
	v_cvt_f32_f16_e32 v30, v31
	v_cvt_f32_f16_sdwa v31, v31 dst_sel:DWORD dst_unused:UNUSED_PAD src0_sel:WORD_1
	v_pk_add_f32 v[24:25], v[24:25], v[32:33]
	v_rcp_f32_e32 v35, v35
	v_sub_u32_e32 v29, 0, v37
	v_pk_add_f32 v[24:25], v[24:25], v[30:31]
	v_ldexp_f32 v29, v35, v29
	v_mul_f32_e32 v30, 0x3d92220c, v24
	v_fma_f32 v30, -v24, v30, s10
	v_mul_f32_e32 v30, v24, v30
	v_mul_f32_e32 v31, 0x3fb8aa3b, v30
	v_fma_f32 v32, v30, s11, -v31
	v_rndne_f32_e32 v33, v31
	v_fmac_f32_e32 v32, 0x32a5705f, v30
	v_sub_f32_e32 v31, v31, v33
	v_add_f32_e32 v31, v31, v32
	v_exp_f32_e32 v31, v31
	v_cvt_i32_f32_e32 v32, v33
	v_pk_mul_f32 v[22:23], v[22:23], v[28:29]
	v_mul_f32_e32 v28, 0x3d92220c, v25
	v_fma_f32 v28, -v25, v28, s10
	v_mul_f32_e32 v29, v25, v28
	v_mul_f32_e32 v28, 0x3fb8aa3b, v29
	v_cvt_pk_f16_f32 v22, v22, v23
	v_ldexp_f32 v23, v31, v32
	v_fma_f32 v31, v29, s11, -v28
	v_rndne_f32_e32 v32, v28
	v_fmac_f32_e32 v31, 0x32a5705f, v29
	v_sub_f32_e32 v28, v28, v32
	v_add_f32_e32 v28, v28, v31
	v_exp_f32_e32 v31, v28
	v_cvt_i32_f32_e32 v32, v32
	v_cmp_ngt_f32_e32 vcc, s8, v30
	s_nop 1
	v_cndmask_b32_e32 v23, 0, v23, vcc
	v_cmp_nlt_f32_e32 vcc, s9, v30
	s_nop 1
	v_cndmask_b32_e32 v28, v51, v23, vcc
	v_ldexp_f32 v23, v31, v32
	v_cmp_ngt_f32_e32 vcc, s8, v29
	v_add_lshl_u32 v32, v36, s17, 1
	s_nop 0
	v_cndmask_b32_e32 v23, 0, v23, vcc
	v_cmp_nlt_f32_e32 vcc, s9, v29
	s_nop 1
	v_cndmask_b32_e32 v29, v51, v23, vcc
	v_pk_add_f32 v[28:29], v[28:29], 1.0 op_sel_hi:[1,0]
	s_nop 0
	v_frexp_mant_f32_e32 v23, v28
	v_rcp_f32_e32 v23, v23
	v_frexp_mant_f32_e32 v30, v29
	v_frexp_exp_i32_f32_e32 v28, v28
	v_rcp_f32_e32 v30, v30
	v_sub_u32_e32 v28, 0, v28
	v_ldexp_f32 v28, v23, v28
	v_frexp_exp_i32_f32_e32 v23, v29
	v_sub_u32_e32 v23, 0, v23
	v_ldexp_f32 v29, v30, v23
	v_pk_mul_f32 v[24:25], v[24:25], v[28:29]
	s_nop 0
	v_cvt_pk_f16_f32 v23, v24, v25
	v_lshlrev_b32_e32 v24, 1, v34
	buffer_store_dwordx2 v[22:23], v24, s[0:3], 0 offen
	s_waitcnt lgkmcnt(0)
	s_barrier
	ds_write2_b32 v53, v18, v19 offset1:32
	ds_write2_b32 v53, v20, v21 offset0:64 offset1:96
	s_waitcnt lgkmcnt(0)
	s_barrier
	buffer_load_dwordx2 v[22:23], v27, s[12:15], 0 offen
	buffer_load_dwordx2 v[24:25], v32, s[4:7], 0 offen
	ds_read_b128 v[18:21], v54
	s_waitcnt vmcnt(1)
	v_cvt_f32_f16_e32 v28, v22
	v_cvt_f32_f16_sdwa v29, v22 dst_sel:DWORD dst_unused:UNUSED_PAD src0_sel:WORD_1
	s_waitcnt vmcnt(0)
	v_cvt_f32_f16_e32 v30, v24
	v_cvt_f32_f16_sdwa v31, v24 dst_sel:DWORD dst_unused:UNUSED_PAD src0_sel:WORD_1
	s_waitcnt lgkmcnt(0)
	v_pk_add_f32 v[18:19], v[18:19], v[28:29]
	s_nop 0
	v_pk_add_f32 v[18:19], v[18:19], v[30:31]
	s_nop 0
	v_mul_f32_e32 v22, 0x3d92220c, v18
	v_fma_f32 v22, -v18, v22, s10
	v_mul_f32_e32 v22, v18, v22
	v_mul_f32_e32 v24, 0x3fb8aa3b, v22
	v_fma_f32 v28, v22, s11, -v24
	v_rndne_f32_e32 v29, v24
	v_fmac_f32_e32 v28, 0x32a5705f, v22
	v_sub_f32_e32 v24, v24, v29
	v_add_f32_e32 v24, v24, v28
	v_exp_f32_e32 v24, v24
	v_cvt_i32_f32_e32 v28, v29
	v_cmp_ngt_f32_e32 vcc, s8, v22
	v_ldexp_f32 v24, v24, v28
	v_mul_f32_e32 v28, 0x3d92220c, v19
	v_fma_f32 v28, -v19, v28, s10
	v_mul_f32_e32 v29, v19, v28
	v_mul_f32_e32 v28, 0x3fb8aa3b, v29
	v_fma_f32 v30, v29, s11, -v28
	v_rndne_f32_e32 v31, v28
	v_fmac_f32_e32 v30, 0x32a5705f, v29
	v_sub_f32_e32 v28, v28, v31
	v_add_f32_e32 v28, v28, v30
	v_exp_f32_e32 v30, v28
	v_cvt_i32_f32_e32 v31, v31
	v_cndmask_b32_e32 v24, 0, v24, vcc
	v_cmp_nlt_f32_e32 vcc, s9, v22
	v_ldexp_f32 v22, v30, v31
	s_nop 0
	v_cndmask_b32_e32 v28, v51, v24, vcc
	v_cmp_ngt_f32_e32 vcc, s8, v29
	s_nop 1
	v_cndmask_b32_e32 v22, 0, v22, vcc
	v_cmp_nlt_f32_e32 vcc, s9, v29
	s_nop 1
	v_cndmask_b32_e32 v29, v51, v22, vcc
	v_pk_add_f32 v[28:29], v[28:29], 1.0 op_sel_hi:[1,0]
	s_nop 0
	v_frexp_mant_f32_e32 v22, v28
	v_rcp_f32_e32 v22, v22
	v_frexp_exp_i32_f32_e32 v24, v28
	v_sub_u32_e32 v24, 0, v24
	v_frexp_mant_f32_e32 v30, v29
	v_frexp_exp_i32_f32_e32 v31, v29
	v_cvt_f32_f16_e32 v28, v23
	v_cvt_f32_f16_sdwa v29, v23 dst_sel:DWORD dst_unused:UNUSED_PAD src0_sel:WORD_1
	v_ldexp_f32 v22, v22, v24
	v_cvt_f32_f16_e32 v24, v25
	v_cvt_f32_f16_sdwa v25, v25 dst_sel:DWORD dst_unused:UNUSED_PAD src0_sel:WORD_1
	v_pk_add_f32 v[20:21], v[20:21], v[28:29]
	v_rcp_f32_e32 v30, v30
	v_sub_u32_e32 v23, 0, v31
	v_pk_add_f32 v[20:21], v[20:21], v[24:25]
	v_ldexp_f32 v23, v30, v23
	v_mul_f32_e32 v24, 0x3d92220c, v20
	v_fma_f32 v24, -v20, v24, s10
	v_mul_f32_e32 v24, v20, v24
	v_mul_f32_e32 v25, 0x3fb8aa3b, v24
	v_fma_f32 v28, v24, s11, -v25
	v_rndne_f32_e32 v29, v25
	v_fmac_f32_e32 v28, 0x32a5705f, v24
	v_sub_f32_e32 v25, v25, v29
	v_add_f32_e32 v25, v25, v28
	v_exp_f32_e32 v25, v25
	v_cvt_i32_f32_e32 v28, v29
	v_pk_mul_f32 v[18:19], v[18:19], v[22:23]
	v_mul_f32_e32 v22, 0x3d92220c, v21
	v_fma_f32 v22, -v21, v22, s10
	v_mul_f32_e32 v23, v21, v22
	v_mul_f32_e32 v22, 0x3fb8aa3b, v23
	v_cvt_pk_f16_f32 v18, v18, v19
	v_ldexp_f32 v19, v25, v28
	v_fma_f32 v25, v23, s11, -v22
	v_rndne_f32_e32 v28, v22
	v_fmac_f32_e32 v25, 0x32a5705f, v23
	v_sub_f32_e32 v22, v22, v28
	v_add_f32_e32 v22, v22, v25
	v_exp_f32_e32 v25, v22
	v_cvt_i32_f32_e32 v28, v28
	v_cmp_ngt_f32_e32 vcc, s8, v24
	s_nop 1
	v_cndmask_b32_e32 v19, 0, v19, vcc
	v_cmp_nlt_f32_e32 vcc, s9, v24
	s_nop 1
	v_cndmask_b32_e32 v22, v51, v19, vcc
	v_ldexp_f32 v19, v25, v28
	v_cmp_ngt_f32_e32 vcc, s8, v23
	v_add_lshl_u32 v28, v34, s16, 1
	s_nop 0
	v_cndmask_b32_e32 v19, 0, v19, vcc
	v_cmp_nlt_f32_e32 vcc, s9, v23
	s_nop 1
	v_cndmask_b32_e32 v23, v51, v19, vcc
	v_pk_add_f32 v[22:23], v[22:23], 1.0 op_sel_hi:[1,0]
	s_nop 0
	v_frexp_mant_f32_e32 v19, v22
	v_rcp_f32_e32 v19, v19
	v_frexp_mant_f32_e32 v24, v23
	v_frexp_exp_i32_f32_e32 v22, v22
	v_rcp_f32_e32 v24, v24
	v_sub_u32_e32 v22, 0, v22
	v_ldexp_f32 v22, v19, v22
	v_frexp_exp_i32_f32_e32 v19, v23
	v_sub_u32_e32 v19, 0, v19
	v_ldexp_f32 v23, v24, v19
	v_pk_mul_f32 v[20:21], v[20:21], v[22:23]
	s_nop 0
	v_cvt_pk_f16_f32 v19, v20, v21
	buffer_store_dwordx2 v[18:19], v28, s[0:3], 0 offen
	s_waitcnt lgkmcnt(0)
	s_barrier
	ds_write2_b32 v53, v14, v15 offset1:32
	ds_write2_b32 v53, v16, v17 offset0:64 offset1:96
	v_subrev_u32_e32 v14, 64, v27
	s_waitcnt lgkmcnt(0)
	s_barrier
	buffer_load_dwordx2 v[18:19], v14, s[12:15], 0 offen
	v_subrev_u32_e32 v14, 64, v32
	buffer_load_dwordx2 v[20:21], v14, s[4:7], 0 offen
	ds_read_b128 v[14:17], v54
	s_waitcnt vmcnt(1)
	v_cvt_f32_f16_e32 v22, v18
	v_cvt_f32_f16_sdwa v23, v18 dst_sel:DWORD dst_unused:UNUSED_PAD src0_sel:WORD_1
	s_waitcnt vmcnt(0)
	v_cvt_f32_f16_e32 v24, v20
	v_cvt_f32_f16_sdwa v25, v20 dst_sel:DWORD dst_unused:UNUSED_PAD src0_sel:WORD_1
	s_waitcnt lgkmcnt(0)
	v_pk_add_f32 v[14:15], v[14:15], v[22:23]
	s_nop 0
	v_pk_add_f32 v[14:15], v[14:15], v[24:25]
	s_nop 0
	v_mul_f32_e32 v18, 0x3d92220c, v14
	v_fma_f32 v18, -v14, v18, s10
	v_mul_f32_e32 v18, v14, v18
	v_mul_f32_e32 v20, 0x3fb8aa3b, v18
	v_fma_f32 v22, v18, s11, -v20
	v_rndne_f32_e32 v23, v20
	v_fmac_f32_e32 v22, 0x32a5705f, v18
	v_sub_f32_e32 v20, v20, v23
	v_add_f32_e32 v20, v20, v22
	v_exp_f32_e32 v20, v20
	v_cvt_i32_f32_e32 v22, v23
	v_cmp_ngt_f32_e32 vcc, s8, v18
	v_ldexp_f32 v20, v20, v22
	v_mul_f32_e32 v22, 0x3d92220c, v15
	v_fma_f32 v22, -v15, v22, s10
	v_mul_f32_e32 v23, v15, v22
	v_mul_f32_e32 v22, 0x3fb8aa3b, v23
	v_fma_f32 v24, v23, s11, -v22
	v_rndne_f32_e32 v25, v22
	v_fmac_f32_e32 v24, 0x32a5705f, v23
	v_sub_f32_e32 v22, v22, v25
	v_add_f32_e32 v22, v22, v24
	v_exp_f32_e32 v24, v22
	v_cvt_i32_f32_e32 v25, v25
	v_cndmask_b32_e32 v20, 0, v20, vcc
	v_cmp_nlt_f32_e32 vcc, s9, v18
	v_ldexp_f32 v18, v24, v25
	s_nop 0
	v_cndmask_b32_e32 v22, v51, v20, vcc
	v_cmp_ngt_f32_e32 vcc, s8, v23
	s_nop 1
	v_cndmask_b32_e32 v18, 0, v18, vcc
	v_cmp_nlt_f32_e32 vcc, s9, v23
	s_nop 1
	v_cndmask_b32_e32 v23, v51, v18, vcc
	v_pk_add_f32 v[22:23], v[22:23], 1.0 op_sel_hi:[1,0]
	s_nop 0
	v_frexp_mant_f32_e32 v18, v22
	v_rcp_f32_e32 v18, v18
	v_frexp_exp_i32_f32_e32 v20, v22
	v_sub_u32_e32 v20, 0, v20
	v_frexp_mant_f32_e32 v24, v23
	v_frexp_exp_i32_f32_e32 v25, v23
	v_cvt_f32_f16_e32 v22, v19
	v_cvt_f32_f16_sdwa v23, v19 dst_sel:DWORD dst_unused:UNUSED_PAD src0_sel:WORD_1
	v_ldexp_f32 v18, v18, v20
	v_cvt_f32_f16_e32 v20, v21
	v_cvt_f32_f16_sdwa v21, v21 dst_sel:DWORD dst_unused:UNUSED_PAD src0_sel:WORD_1
	v_pk_add_f32 v[16:17], v[16:17], v[22:23]
	v_rcp_f32_e32 v24, v24
	v_sub_u32_e32 v19, 0, v25
	v_pk_add_f32 v[16:17], v[16:17], v[20:21]
	v_ldexp_f32 v19, v24, v19
	v_mul_f32_e32 v20, 0x3d92220c, v16
	v_fma_f32 v20, -v16, v20, s10
	v_mul_f32_e32 v20, v16, v20
	v_mul_f32_e32 v21, 0x3fb8aa3b, v20
	v_fma_f32 v22, v20, s11, -v21
	v_rndne_f32_e32 v23, v21
	v_fmac_f32_e32 v22, 0x32a5705f, v20
	v_sub_f32_e32 v21, v21, v23
	v_add_f32_e32 v21, v21, v22
	v_exp_f32_e32 v21, v21
	v_cvt_i32_f32_e32 v22, v23
	v_pk_mul_f32 v[14:15], v[14:15], v[18:19]
	v_mul_f32_e32 v18, 0x3d92220c, v17
	v_fma_f32 v18, -v17, v18, s10
	v_mul_f32_e32 v19, v17, v18
	v_mul_f32_e32 v18, 0x3fb8aa3b, v19
	v_cvt_pk_f16_f32 v14, v14, v15
	v_ldexp_f32 v15, v21, v22
	v_fma_f32 v21, v19, s11, -v18
	v_rndne_f32_e32 v22, v18
	v_fmac_f32_e32 v21, 0x32a5705f, v19
	v_sub_f32_e32 v18, v18, v22
	v_add_f32_e32 v18, v18, v21
	v_exp_f32_e32 v21, v18
	v_cvt_i32_f32_e32 v22, v22
	v_cmp_ngt_f32_e32 vcc, s8, v20
	s_nop 1
	v_cndmask_b32_e32 v15, 0, v15, vcc
	v_cmp_nlt_f32_e32 vcc, s9, v20
	s_nop 1
	v_cndmask_b32_e32 v18, v51, v15, vcc
	v_ldexp_f32 v15, v21, v22
	v_cmp_ngt_f32_e32 vcc, s8, v19
	s_nop 1
	v_cndmask_b32_e32 v15, 0, v15, vcc
	v_cmp_nlt_f32_e32 vcc, s9, v19
	s_nop 1
	v_cndmask_b32_e32 v19, v51, v15, vcc
	v_pk_add_f32 v[18:19], v[18:19], 1.0 op_sel_hi:[1,0]
	s_nop 0
	v_frexp_mant_f32_e32 v15, v18
	v_rcp_f32_e32 v15, v15
	v_frexp_mant_f32_e32 v20, v19
	v_frexp_exp_i32_f32_e32 v18, v18
	v_rcp_f32_e32 v20, v20
	v_sub_u32_e32 v18, 0, v18
	v_ldexp_f32 v18, v15, v18
	v_frexp_exp_i32_f32_e32 v15, v19
	v_sub_u32_e32 v15, 0, v15
	v_ldexp_f32 v19, v20, v15
	v_pk_mul_f32 v[16:17], v[16:17], v[18:19]
	s_nop 0
	v_cvt_pk_f16_f32 v15, v16, v17
	v_subrev_u32_e32 v16, 64, v28
	buffer_store_dwordx2 v[14:15], v16, s[0:3], 0 offen
	s_waitcnt lgkmcnt(0)
	s_barrier
	ds_write2_b32 v53, v10, v11 offset1:32
	ds_write2_b32 v53, v12, v13 offset0:64 offset1:96
	v_add_u32_e32 v10, 0xffffff80, v27
	s_waitcnt lgkmcnt(0)
	s_barrier
	buffer_load_dwordx2 v[14:15], v10, s[12:15], 0 offen
	v_add_u32_e32 v10, 0xffffff80, v32
	buffer_load_dwordx2 v[16:17], v10, s[4:7], 0 offen
	ds_read_b128 v[10:13], v54
	s_waitcnt vmcnt(1)
	v_cvt_f32_f16_e32 v18, v14
	v_cvt_f32_f16_sdwa v19, v14 dst_sel:DWORD dst_unused:UNUSED_PAD src0_sel:WORD_1
	s_waitcnt vmcnt(0)
	v_cvt_f32_f16_e32 v20, v16
	v_cvt_f32_f16_sdwa v21, v16 dst_sel:DWORD dst_unused:UNUSED_PAD src0_sel:WORD_1
	v_cvt_f32_f16_e32 v8, v15
	s_waitcnt lgkmcnt(0)
	v_pk_add_f32 v[10:11], v[10:11], v[18:19]
	v_cvt_f32_f16_sdwa v9, v15 dst_sel:DWORD dst_unused:UNUSED_PAD src0_sel:WORD_1
	v_pk_add_f32 v[10:11], v[10:11], v[20:21]
	v_cvt_f32_f16_sdwa v15, v17 dst_sel:DWORD dst_unused:UNUSED_PAD src0_sel:WORD_1
	v_mul_f32_e32 v14, 0x3d92220c, v10
	v_fma_f32 v14, -v10, v14, s10
	v_mul_f32_e32 v14, v10, v14
	v_mul_f32_e32 v16, 0x3fb8aa3b, v14
	v_fma_f32 v18, v14, s11, -v16
	v_rndne_f32_e32 v19, v16
	v_fmac_f32_e32 v18, 0x32a5705f, v14
	v_sub_f32_e32 v16, v16, v19
	v_add_f32_e32 v16, v16, v18
	v_exp_f32_e32 v16, v16
	v_cvt_i32_f32_e32 v18, v19
	v_cmp_ngt_f32_e32 vcc, s8, v14
	v_pk_add_f32 v[8:9], v[12:13], v[8:9]
	v_ldexp_f32 v16, v16, v18
	v_mul_f32_e32 v18, 0x3d92220c, v11
	v_fma_f32 v18, -v11, v18, s10
	v_mul_f32_e32 v19, v11, v18
	v_mul_f32_e32 v18, 0x3fb8aa3b, v19
	v_fma_f32 v20, v19, s11, -v18
	v_rndne_f32_e32 v21, v18
	v_fmac_f32_e32 v20, 0x32a5705f, v19
	v_sub_f32_e32 v18, v18, v21
	v_add_f32_e32 v18, v18, v20
	v_exp_f32_e32 v20, v18
	v_cvt_i32_f32_e32 v21, v21
	v_cndmask_b32_e32 v16, 0, v16, vcc
	v_cmp_nlt_f32_e32 vcc, s9, v14
	v_ldexp_f32 v14, v20, v21
	s_nop 0
	v_cndmask_b32_e32 v18, v51, v16, vcc
	v_cmp_ngt_f32_e32 vcc, s8, v19
	s_nop 1
	v_cndmask_b32_e32 v14, 0, v14, vcc
	v_cmp_nlt_f32_e32 vcc, s9, v19
	s_nop 1
	v_cndmask_b32_e32 v19, v51, v14, vcc
	v_pk_add_f32 v[18:19], v[18:19], 1.0 op_sel_hi:[1,0]
	s_nop 0
	v_frexp_mant_f32_e32 v14, v18
	v_rcp_f32_e32 v14, v14
	v_frexp_exp_i32_f32_e32 v6, v18
	v_sub_u32_e32 v6, 0, v6
	v_frexp_mant_f32_e32 v7, v19
	v_ldexp_f32 v6, v14, v6
	v_cvt_f32_f16_e32 v14, v17
	v_rcp_f32_e32 v7, v7
	v_frexp_exp_i32_f32_e32 v16, v19
	v_sub_u32_e32 v16, 0, v16
	v_pk_add_f32 v[8:9], v[8:9], v[14:15]
	v_ldexp_f32 v7, v7, v16
	v_mul_f32_e32 v12, 0x3d92220c, v8
	v_fma_f32 v12, -v8, v12, s10
	v_mul_f32_e32 v12, v8, v12
	v_mul_f32_e32 v13, 0x3fb8aa3b, v12
	v_fma_f32 v14, v12, s11, -v13
	v_rndne_f32_e32 v15, v13
	v_fmac_f32_e32 v14, 0x32a5705f, v12
	v_sub_f32_e32 v13, v13, v15
	v_add_f32_e32 v13, v13, v14
	v_exp_f32_e32 v13, v13
	v_cvt_i32_f32_e32 v14, v15
	v_pk_mul_f32 v[6:7], v[10:11], v[6:7]
	v_mul_f32_e32 v10, 0x3d92220c, v9
	v_fma_f32 v10, -v9, v10, s10
	v_mul_f32_e32 v11, v9, v10
	v_mul_f32_e32 v10, 0x3fb8aa3b, v11
	v_cvt_pk_f16_f32 v6, v6, v7
	v_ldexp_f32 v7, v13, v14
	v_fma_f32 v13, v11, s11, -v10
	v_rndne_f32_e32 v14, v10
	v_fmac_f32_e32 v13, 0x32a5705f, v11
	v_sub_f32_e32 v10, v10, v14
	v_add_f32_e32 v10, v10, v13
	v_exp_f32_e32 v13, v10
	v_cvt_i32_f32_e32 v14, v14
	v_cmp_ngt_f32_e32 vcc, s8, v12
	s_nop 1
	v_cndmask_b32_e32 v7, 0, v7, vcc
	v_cmp_nlt_f32_e32 vcc, s9, v12
	s_nop 1
	v_cndmask_b32_e32 v10, v51, v7, vcc
	v_ldexp_f32 v7, v13, v14
	v_cmp_ngt_f32_e32 vcc, s8, v11
	s_nop 1
	v_cndmask_b32_e32 v7, 0, v7, vcc
	v_cmp_nlt_f32_e32 vcc, s9, v11
	s_nop 1
	v_cndmask_b32_e32 v11, v51, v7, vcc
	v_pk_add_f32 v[10:11], v[10:11], 1.0 op_sel_hi:[1,0]
	s_nop 0
	v_frexp_mant_f32_e32 v7, v10
	v_rcp_f32_e32 v7, v7
	v_frexp_mant_f32_e32 v12, v11
	v_frexp_exp_i32_f32_e32 v10, v10
	v_rcp_f32_e32 v12, v12
	v_sub_u32_e32 v10, 0, v10
	v_ldexp_f32 v10, v7, v10
	v_frexp_exp_i32_f32_e32 v7, v11
	v_sub_u32_e32 v7, 0, v7
	v_ldexp_f32 v11, v12, v7
	v_pk_mul_f32 v[8:9], v[8:9], v[10:11]
	s_nop 0
	v_cvt_pk_f16_f32 v7, v8, v9
	v_add_u32_e32 v8, 0xffffff80, v28
	buffer_store_dwordx2 v[6:7], v8, s[0:3], 0 offen
	s_waitcnt lgkmcnt(0)
	s_barrier
	ds_write2_b32 v53, v2, v3 offset1:32
	ds_write2_b32 v53, v4, v5 offset0:64 offset1:96
	v_add_lshl_u32 v2, v26, s18, 1
	s_waitcnt lgkmcnt(0)
	s_barrier
	buffer_load_dwordx2 v[6:7], v2, s[12:15], 0 offen
	buffer_load_dwordx2 v[8:9], v1, s[4:7], 0 offen
	ds_read_b128 v[2:5], v54
	s_waitcnt vmcnt(1)
	v_cvt_f32_f16_e32 v10, v6
	v_cvt_f32_f16_sdwa v11, v6 dst_sel:DWORD dst_unused:UNUSED_PAD src0_sel:WORD_1
	s_waitcnt vmcnt(0)
	v_cvt_f32_f16_e32 v12, v8
	v_cvt_f32_f16_sdwa v13, v8 dst_sel:DWORD dst_unused:UNUSED_PAD src0_sel:WORD_1
	s_waitcnt lgkmcnt(0)
	v_pk_add_f32 v[2:3], v[2:3], v[10:11]
	s_nop 0
	v_pk_add_f32 v[2:3], v[2:3], v[12:13]
	s_nop 0
	v_mul_f32_e32 v1, 0x3d92220c, v2
	v_fma_f32 v1, -v2, v1, s10
	v_mul_f32_e32 v1, v2, v1
	v_mul_f32_e32 v6, 0x3fb8aa3b, v1
	v_fma_f32 v8, v1, s11, -v6
	v_rndne_f32_e32 v10, v6
	v_fmac_f32_e32 v8, 0x32a5705f, v1
	v_sub_f32_e32 v6, v6, v10
	v_add_f32_e32 v6, v6, v8
	v_exp_f32_e32 v6, v6
	v_cvt_i32_f32_e32 v8, v10
	v_cmp_ngt_f32_e32 vcc, s8, v1
	v_ldexp_f32 v6, v6, v8
	v_mul_f32_e32 v8, 0x3d92220c, v3
	v_fma_f32 v8, -v3, v8, s10
	v_mul_f32_e32 v8, v3, v8
	v_mul_f32_e32 v10, 0x3fb8aa3b, v8
	v_fma_f32 v11, v8, s11, -v10
	v_rndne_f32_e32 v12, v10
	v_fmac_f32_e32 v11, 0x32a5705f, v8
	v_sub_f32_e32 v10, v10, v12
	v_add_f32_e32 v10, v10, v11
	v_exp_f32_e32 v11, v10
	v_cvt_i32_f32_e32 v12, v12
	v_cndmask_b32_e32 v6, 0, v6, vcc
	v_cmp_nlt_f32_e32 vcc, s9, v1
	v_ldexp_f32 v1, v11, v12
	s_nop 0
	v_cndmask_b32_e32 v10, v51, v6, vcc
	v_cmp_ngt_f32_e32 vcc, s8, v8
	s_nop 1
	v_cndmask_b32_e32 v1, 0, v1, vcc
	v_cmp_nlt_f32_e32 vcc, s9, v8
	v_cvt_f32_f16_e32 v8, v9
	v_cvt_f32_f16_sdwa v9, v9 dst_sel:DWORD dst_unused:UNUSED_PAD src0_sel:WORD_1
	v_cndmask_b32_e32 v11, v51, v1, vcc
	v_pk_add_f32 v[10:11], v[10:11], 1.0 op_sel_hi:[1,0]
	s_nop 0
	v_frexp_mant_f32_e32 v1, v10
	v_rcp_f32_e32 v1, v1
	v_frexp_exp_i32_f32_e32 v6, v10
	v_sub_u32_e32 v6, 0, v6
	v_frexp_exp_i32_f32_e32 v12, v11
	v_ldexp_f32 v6, v1, v6
	v_frexp_mant_f32_e32 v1, v11
	v_cvt_f32_f16_e32 v10, v7
	v_cvt_f32_f16_sdwa v11, v7 dst_sel:DWORD dst_unused:UNUSED_PAD src0_sel:WORD_1
	v_rcp_f32_e32 v1, v1
	v_sub_u32_e32 v7, 0, v12
	v_pk_add_f32 v[4:5], v[4:5], v[10:11]
	s_nop 0
	v_pk_add_f32 v[4:5], v[4:5], v[8:9]
	v_ldexp_f32 v7, v1, v7
	v_mul_f32_e32 v8, 0x3d92220c, v4
	v_fma_f32 v8, -v4, v8, s10
	v_mul_f32_e32 v8, v4, v8
	v_mul_f32_e32 v9, 0x3fb8aa3b, v8
	v_fma_f32 v10, v8, s11, -v9
	v_rndne_f32_e32 v11, v9
	v_fmac_f32_e32 v10, 0x32a5705f, v8
	v_sub_f32_e32 v9, v9, v11
	v_add_f32_e32 v9, v9, v10
	v_pk_mul_f32 v[2:3], v[2:3], v[6:7]
	v_exp_f32_e32 v9, v9
	v_cvt_i32_f32_e32 v10, v11
	v_cvt_pk_f16_f32 v2, v2, v3
	v_mul_f32_e32 v3, 0x3d92220c, v5
	v_fma_f32 v3, -v5, v3, s10
	v_mul_f32_e32 v3, v5, v3
	v_mul_f32_e32 v6, 0x3fb8aa3b, v3
	v_ldexp_f32 v1, v9, v10
	v_fma_f32 v7, v3, s11, -v6
	v_rndne_f32_e32 v9, v6
	v_fmac_f32_e32 v7, 0x32a5705f, v3
	v_sub_f32_e32 v6, v6, v9
	v_add_f32_e32 v6, v6, v7
	v_exp_f32_e32 v7, v6
	v_cvt_i32_f32_e32 v9, v9
	v_cmp_ngt_f32_e32 vcc, s8, v8
	s_nop 1
	v_cndmask_b32_e32 v1, 0, v1, vcc
	v_cmp_nlt_f32_e32 vcc, s9, v8
	s_nop 1
	v_cndmask_b32_e32 v6, v51, v1, vcc
	v_ldexp_f32 v1, v7, v9
	v_cmp_ngt_f32_e32 vcc, s8, v3
	s_nop 1
	v_cndmask_b32_e32 v1, 0, v1, vcc
	v_cmp_nlt_f32_e32 vcc, s9, v3
	s_nop 1
	v_cndmask_b32_e32 v7, v51, v1, vcc
	v_pk_add_f32 v[6:7], v[6:7], 1.0 op_sel_hi:[1,0]
	s_nop 0
	v_frexp_mant_f32_e32 v1, v6
	v_rcp_f32_e32 v1, v1
	v_frexp_exp_i32_f32_e32 v3, v6
	v_frexp_mant_f32_e32 v6, v7
	v_rcp_f32_e32 v8, v6
	v_sub_u32_e32 v3, 0, v3
	v_ldexp_f32 v6, v1, v3
	v_frexp_exp_i32_f32_e32 v1, v7
	v_sub_u32_e32 v1, 0, v1
	v_ldexp_f32 v7, v8, v1
	v_pk_mul_f32 v[4:5], v[4:5], v[6:7]
	s_nop 0
	v_cvt_pk_f16_f32 v3, v4, v5
	buffer_store_dwordx2 v[2:3], v0, s[0:3], 0 offen
	s_endpgm
	.section	.rodata,"a",@progbits
	.p2align	6, 0x0
	.amdhsa_kernel _ZN2ck35kernel_gemm_multiple_d_xdl_cshuffleINS_34GridwiseGemmMultipleD_xdl_cshuffleIDF16_DF16_DF16_ffNS_5TupleIJDF16_DF16_EEEDF16_NS_16tensor_operation12element_wise11PassThroughES6_NS5_14AddAddFastGeluELi1ELi256ELi256ELi128ELi32ELi8ELi8ELi16ELi16ELi8ELi4ENS_8SequenceIJLi4ELi64ELi1EEEENS8_IJLi1ELi0ELi2EEEESA_Li2ELi8ELi8ELb0ELi1ES9_SA_SA_Li2ELi8ELi8ELb0ELi1ELi1ELi1ENS8_IJLi1ELi32ELi1ELi8EEEELi4ELNS_13LoopSchedulerE0ELNS_15PipelineVersionE0EDF16_Lb0EEEDF16_DF16_NS2_IJPKDF16_SG_EEEDF16_S6_S6_S7_NS_16TensorDescriptorINS2_IJNS_5EmbedINS2_IJiiEEENS2_IJiNS_17integral_constantIiLi1EEEEEELb0EEENS_11PassThroughIiEESQ_NS_7UnMergeINS2_IJiNSL_IiLi8EEEEEELb0EEESQ_EEENS2_IJNS8_IJLi0EEEENS8_IJLi1EEEENS8_IJLi2EEEENS8_IJLi4EEEENS8_IJLi3EEEEEEENS2_IJNS8_IJLi1ELi2EEEES10_SZ_NS8_IJLi5ELi6EEEENS8_IJLi7EEEEEEENS8_IJLi5ELi7ELi6EEEElEES17_NS2_IJNSI_INS2_IJSO_SQ_SQ_NSR_INS2_IJiNSL_IiLi256EEEEEELb0EEENSR_INS2_IJiNSL_IiLi128EEEEEELb0EEEEEENS2_IJSW_SX_SY_S10_SZ_EEENS2_IJS12_S10_SZ_S13_NS8_IJLi7ELi8EEEEEEENS8_IJLi5ELi6ELi7ELi8EEEElEES1J_EEES1J_NS_31BlockToCTileMap_M00_N0_M01AdaptILi256ELi128ENSI_INS2_IJSO_SQ_SQ_EEENS2_IJSW_SX_SY_EEENS2_IJS12_S10_SZ_EEENS8_IJLi3ELi4EEEElEEiEELb0EEEvPKT0_PKT1_T2_PT3_T4_T5_T6_T7_T8_T9_T10_T11_
		.amdhsa_group_segment_fixed_size 24672
		.amdhsa_private_segment_fixed_size 0
		.amdhsa_kernarg_size 364
		.amdhsa_user_sgpr_count 2
		.amdhsa_user_sgpr_dispatch_ptr 0
		.amdhsa_user_sgpr_queue_ptr 0
		.amdhsa_user_sgpr_kernarg_segment_ptr 1
		.amdhsa_user_sgpr_dispatch_id 0
		.amdhsa_user_sgpr_kernarg_preload_length 0
		.amdhsa_user_sgpr_kernarg_preload_offset 0
		.amdhsa_user_sgpr_private_segment_size 0
		.amdhsa_uses_dynamic_stack 0
		.amdhsa_enable_private_segment 0
		.amdhsa_system_sgpr_workgroup_id_x 1
		.amdhsa_system_sgpr_workgroup_id_y 0
		.amdhsa_system_sgpr_workgroup_id_z 0
		.amdhsa_system_sgpr_workgroup_info 0
		.amdhsa_system_vgpr_workitem_id 0
		.amdhsa_next_free_vgpr 75
		.amdhsa_next_free_sgpr 91
		.amdhsa_accum_offset 76
		.amdhsa_reserve_vcc 1
		.amdhsa_float_round_mode_32 0
		.amdhsa_float_round_mode_16_64 0
		.amdhsa_float_denorm_mode_32 3
		.amdhsa_float_denorm_mode_16_64 3
		.amdhsa_dx10_clamp 1
		.amdhsa_ieee_mode 1
		.amdhsa_fp16_overflow 0
		.amdhsa_tg_split 0
		.amdhsa_exception_fp_ieee_invalid_op 0
		.amdhsa_exception_fp_denorm_src 0
		.amdhsa_exception_fp_ieee_div_zero 0
		.amdhsa_exception_fp_ieee_overflow 0
		.amdhsa_exception_fp_ieee_underflow 0
		.amdhsa_exception_fp_ieee_inexact 0
		.amdhsa_exception_int_div_zero 0
	.end_amdhsa_kernel
	.section	.text._ZN2ck35kernel_gemm_multiple_d_xdl_cshuffleINS_34GridwiseGemmMultipleD_xdl_cshuffleIDF16_DF16_DF16_ffNS_5TupleIJDF16_DF16_EEEDF16_NS_16tensor_operation12element_wise11PassThroughES6_NS5_14AddAddFastGeluELi1ELi256ELi256ELi128ELi32ELi8ELi8ELi16ELi16ELi8ELi4ENS_8SequenceIJLi4ELi64ELi1EEEENS8_IJLi1ELi0ELi2EEEESA_Li2ELi8ELi8ELb0ELi1ES9_SA_SA_Li2ELi8ELi8ELb0ELi1ELi1ELi1ENS8_IJLi1ELi32ELi1ELi8EEEELi4ELNS_13LoopSchedulerE0ELNS_15PipelineVersionE0EDF16_Lb0EEEDF16_DF16_NS2_IJPKDF16_SG_EEEDF16_S6_S6_S7_NS_16TensorDescriptorINS2_IJNS_5EmbedINS2_IJiiEEENS2_IJiNS_17integral_constantIiLi1EEEEEELb0EEENS_11PassThroughIiEESQ_NS_7UnMergeINS2_IJiNSL_IiLi8EEEEEELb0EEESQ_EEENS2_IJNS8_IJLi0EEEENS8_IJLi1EEEENS8_IJLi2EEEENS8_IJLi4EEEENS8_IJLi3EEEEEEENS2_IJNS8_IJLi1ELi2EEEES10_SZ_NS8_IJLi5ELi6EEEENS8_IJLi7EEEEEEENS8_IJLi5ELi7ELi6EEEElEES17_NS2_IJNSI_INS2_IJSO_SQ_SQ_NSR_INS2_IJiNSL_IiLi256EEEEEELb0EEENSR_INS2_IJiNSL_IiLi128EEEEEELb0EEEEEENS2_IJSW_SX_SY_S10_SZ_EEENS2_IJS12_S10_SZ_S13_NS8_IJLi7ELi8EEEEEEENS8_IJLi5ELi6ELi7ELi8EEEElEES1J_EEES1J_NS_31BlockToCTileMap_M00_N0_M01AdaptILi256ELi128ENSI_INS2_IJSO_SQ_SQ_EEENS2_IJSW_SX_SY_EEENS2_IJS12_S10_SZ_EEENS8_IJLi3ELi4EEEElEEiEELb0EEEvPKT0_PKT1_T2_PT3_T4_T5_T6_T7_T8_T9_T10_T11_,"axG",@progbits,_ZN2ck35kernel_gemm_multiple_d_xdl_cshuffleINS_34GridwiseGemmMultipleD_xdl_cshuffleIDF16_DF16_DF16_ffNS_5TupleIJDF16_DF16_EEEDF16_NS_16tensor_operation12element_wise11PassThroughES6_NS5_14AddAddFastGeluELi1ELi256ELi256ELi128ELi32ELi8ELi8ELi16ELi16ELi8ELi4ENS_8SequenceIJLi4ELi64ELi1EEEENS8_IJLi1ELi0ELi2EEEESA_Li2ELi8ELi8ELb0ELi1ES9_SA_SA_Li2ELi8ELi8ELb0ELi1ELi1ELi1ENS8_IJLi1ELi32ELi1ELi8EEEELi4ELNS_13LoopSchedulerE0ELNS_15PipelineVersionE0EDF16_Lb0EEEDF16_DF16_NS2_IJPKDF16_SG_EEEDF16_S6_S6_S7_NS_16TensorDescriptorINS2_IJNS_5EmbedINS2_IJiiEEENS2_IJiNS_17integral_constantIiLi1EEEEEELb0EEENS_11PassThroughIiEESQ_NS_7UnMergeINS2_IJiNSL_IiLi8EEEEEELb0EEESQ_EEENS2_IJNS8_IJLi0EEEENS8_IJLi1EEEENS8_IJLi2EEEENS8_IJLi4EEEENS8_IJLi3EEEEEEENS2_IJNS8_IJLi1ELi2EEEES10_SZ_NS8_IJLi5ELi6EEEENS8_IJLi7EEEEEEENS8_IJLi5ELi7ELi6EEEElEES17_NS2_IJNSI_INS2_IJSO_SQ_SQ_NSR_INS2_IJiNSL_IiLi256EEEEEELb0EEENSR_INS2_IJiNSL_IiLi128EEEEEELb0EEEEEENS2_IJSW_SX_SY_S10_SZ_EEENS2_IJS12_S10_SZ_S13_NS8_IJLi7ELi8EEEEEEENS8_IJLi5ELi6ELi7ELi8EEEElEES1J_EEES1J_NS_31BlockToCTileMap_M00_N0_M01AdaptILi256ELi128ENSI_INS2_IJSO_SQ_SQ_EEENS2_IJSW_SX_SY_EEENS2_IJS12_S10_SZ_EEENS8_IJLi3ELi4EEEElEEiEELb0EEEvPKT0_PKT1_T2_PT3_T4_T5_T6_T7_T8_T9_T10_T11_,comdat
.Lfunc_end2:
	.size	_ZN2ck35kernel_gemm_multiple_d_xdl_cshuffleINS_34GridwiseGemmMultipleD_xdl_cshuffleIDF16_DF16_DF16_ffNS_5TupleIJDF16_DF16_EEEDF16_NS_16tensor_operation12element_wise11PassThroughES6_NS5_14AddAddFastGeluELi1ELi256ELi256ELi128ELi32ELi8ELi8ELi16ELi16ELi8ELi4ENS_8SequenceIJLi4ELi64ELi1EEEENS8_IJLi1ELi0ELi2EEEESA_Li2ELi8ELi8ELb0ELi1ES9_SA_SA_Li2ELi8ELi8ELb0ELi1ELi1ELi1ENS8_IJLi1ELi32ELi1ELi8EEEELi4ELNS_13LoopSchedulerE0ELNS_15PipelineVersionE0EDF16_Lb0EEEDF16_DF16_NS2_IJPKDF16_SG_EEEDF16_S6_S6_S7_NS_16TensorDescriptorINS2_IJNS_5EmbedINS2_IJiiEEENS2_IJiNS_17integral_constantIiLi1EEEEEELb0EEENS_11PassThroughIiEESQ_NS_7UnMergeINS2_IJiNSL_IiLi8EEEEEELb0EEESQ_EEENS2_IJNS8_IJLi0EEEENS8_IJLi1EEEENS8_IJLi2EEEENS8_IJLi4EEEENS8_IJLi3EEEEEEENS2_IJNS8_IJLi1ELi2EEEES10_SZ_NS8_IJLi5ELi6EEEENS8_IJLi7EEEEEEENS8_IJLi5ELi7ELi6EEEElEES17_NS2_IJNSI_INS2_IJSO_SQ_SQ_NSR_INS2_IJiNSL_IiLi256EEEEEELb0EEENSR_INS2_IJiNSL_IiLi128EEEEEELb0EEEEEENS2_IJSW_SX_SY_S10_SZ_EEENS2_IJS12_S10_SZ_S13_NS8_IJLi7ELi8EEEEEEENS8_IJLi5ELi6ELi7ELi8EEEElEES1J_EEES1J_NS_31BlockToCTileMap_M00_N0_M01AdaptILi256ELi128ENSI_INS2_IJSO_SQ_SQ_EEENS2_IJSW_SX_SY_EEENS2_IJS12_S10_SZ_EEENS8_IJLi3ELi4EEEElEEiEELb0EEEvPKT0_PKT1_T2_PT3_T4_T5_T6_T7_T8_T9_T10_T11_, .Lfunc_end2-_ZN2ck35kernel_gemm_multiple_d_xdl_cshuffleINS_34GridwiseGemmMultipleD_xdl_cshuffleIDF16_DF16_DF16_ffNS_5TupleIJDF16_DF16_EEEDF16_NS_16tensor_operation12element_wise11PassThroughES6_NS5_14AddAddFastGeluELi1ELi256ELi256ELi128ELi32ELi8ELi8ELi16ELi16ELi8ELi4ENS_8SequenceIJLi4ELi64ELi1EEEENS8_IJLi1ELi0ELi2EEEESA_Li2ELi8ELi8ELb0ELi1ES9_SA_SA_Li2ELi8ELi8ELb0ELi1ELi1ELi1ENS8_IJLi1ELi32ELi1ELi8EEEELi4ELNS_13LoopSchedulerE0ELNS_15PipelineVersionE0EDF16_Lb0EEEDF16_DF16_NS2_IJPKDF16_SG_EEEDF16_S6_S6_S7_NS_16TensorDescriptorINS2_IJNS_5EmbedINS2_IJiiEEENS2_IJiNS_17integral_constantIiLi1EEEEEELb0EEENS_11PassThroughIiEESQ_NS_7UnMergeINS2_IJiNSL_IiLi8EEEEEELb0EEESQ_EEENS2_IJNS8_IJLi0EEEENS8_IJLi1EEEENS8_IJLi2EEEENS8_IJLi4EEEENS8_IJLi3EEEEEEENS2_IJNS8_IJLi1ELi2EEEES10_SZ_NS8_IJLi5ELi6EEEENS8_IJLi7EEEEEEENS8_IJLi5ELi7ELi6EEEElEES17_NS2_IJNSI_INS2_IJSO_SQ_SQ_NSR_INS2_IJiNSL_IiLi256EEEEEELb0EEENSR_INS2_IJiNSL_IiLi128EEEEEELb0EEEEEENS2_IJSW_SX_SY_S10_SZ_EEENS2_IJS12_S10_SZ_S13_NS8_IJLi7ELi8EEEEEEENS8_IJLi5ELi6ELi7ELi8EEEElEES1J_EEES1J_NS_31BlockToCTileMap_M00_N0_M01AdaptILi256ELi128ENSI_INS2_IJSO_SQ_SQ_EEENS2_IJSW_SX_SY_EEENS2_IJS12_S10_SZ_EEENS8_IJLi3ELi4EEEElEEiEELb0EEEvPKT0_PKT1_T2_PT3_T4_T5_T6_T7_T8_T9_T10_T11_
                                        ; -- End function
	.set _ZN2ck35kernel_gemm_multiple_d_xdl_cshuffleINS_34GridwiseGemmMultipleD_xdl_cshuffleIDF16_DF16_DF16_ffNS_5TupleIJDF16_DF16_EEEDF16_NS_16tensor_operation12element_wise11PassThroughES6_NS5_14AddAddFastGeluELi1ELi256ELi256ELi128ELi32ELi8ELi8ELi16ELi16ELi8ELi4ENS_8SequenceIJLi4ELi64ELi1EEEENS8_IJLi1ELi0ELi2EEEESA_Li2ELi8ELi8ELb0ELi1ES9_SA_SA_Li2ELi8ELi8ELb0ELi1ELi1ELi1ENS8_IJLi1ELi32ELi1ELi8EEEELi4ELNS_13LoopSchedulerE0ELNS_15PipelineVersionE0EDF16_Lb0EEEDF16_DF16_NS2_IJPKDF16_SG_EEEDF16_S6_S6_S7_NS_16TensorDescriptorINS2_IJNS_5EmbedINS2_IJiiEEENS2_IJiNS_17integral_constantIiLi1EEEEEELb0EEENS_11PassThroughIiEESQ_NS_7UnMergeINS2_IJiNSL_IiLi8EEEEEELb0EEESQ_EEENS2_IJNS8_IJLi0EEEENS8_IJLi1EEEENS8_IJLi2EEEENS8_IJLi4EEEENS8_IJLi3EEEEEEENS2_IJNS8_IJLi1ELi2EEEES10_SZ_NS8_IJLi5ELi6EEEENS8_IJLi7EEEEEEENS8_IJLi5ELi7ELi6EEEElEES17_NS2_IJNSI_INS2_IJSO_SQ_SQ_NSR_INS2_IJiNSL_IiLi256EEEEEELb0EEENSR_INS2_IJiNSL_IiLi128EEEEEELb0EEEEEENS2_IJSW_SX_SY_S10_SZ_EEENS2_IJS12_S10_SZ_S13_NS8_IJLi7ELi8EEEEEEENS8_IJLi5ELi6ELi7ELi8EEEElEES1J_EEES1J_NS_31BlockToCTileMap_M00_N0_M01AdaptILi256ELi128ENSI_INS2_IJSO_SQ_SQ_EEENS2_IJSW_SX_SY_EEENS2_IJS12_S10_SZ_EEENS8_IJLi3ELi4EEEElEEiEELb0EEEvPKT0_PKT1_T2_PT3_T4_T5_T6_T7_T8_T9_T10_T11_.num_vgpr, 75
	.set _ZN2ck35kernel_gemm_multiple_d_xdl_cshuffleINS_34GridwiseGemmMultipleD_xdl_cshuffleIDF16_DF16_DF16_ffNS_5TupleIJDF16_DF16_EEEDF16_NS_16tensor_operation12element_wise11PassThroughES6_NS5_14AddAddFastGeluELi1ELi256ELi256ELi128ELi32ELi8ELi8ELi16ELi16ELi8ELi4ENS_8SequenceIJLi4ELi64ELi1EEEENS8_IJLi1ELi0ELi2EEEESA_Li2ELi8ELi8ELb0ELi1ES9_SA_SA_Li2ELi8ELi8ELb0ELi1ELi1ELi1ENS8_IJLi1ELi32ELi1ELi8EEEELi4ELNS_13LoopSchedulerE0ELNS_15PipelineVersionE0EDF16_Lb0EEEDF16_DF16_NS2_IJPKDF16_SG_EEEDF16_S6_S6_S7_NS_16TensorDescriptorINS2_IJNS_5EmbedINS2_IJiiEEENS2_IJiNS_17integral_constantIiLi1EEEEEELb0EEENS_11PassThroughIiEESQ_NS_7UnMergeINS2_IJiNSL_IiLi8EEEEEELb0EEESQ_EEENS2_IJNS8_IJLi0EEEENS8_IJLi1EEEENS8_IJLi2EEEENS8_IJLi4EEEENS8_IJLi3EEEEEEENS2_IJNS8_IJLi1ELi2EEEES10_SZ_NS8_IJLi5ELi6EEEENS8_IJLi7EEEEEEENS8_IJLi5ELi7ELi6EEEElEES17_NS2_IJNSI_INS2_IJSO_SQ_SQ_NSR_INS2_IJiNSL_IiLi256EEEEEELb0EEENSR_INS2_IJiNSL_IiLi128EEEEEELb0EEEEEENS2_IJSW_SX_SY_S10_SZ_EEENS2_IJS12_S10_SZ_S13_NS8_IJLi7ELi8EEEEEEENS8_IJLi5ELi6ELi7ELi8EEEElEES1J_EEES1J_NS_31BlockToCTileMap_M00_N0_M01AdaptILi256ELi128ENSI_INS2_IJSO_SQ_SQ_EEENS2_IJSW_SX_SY_EEENS2_IJS12_S10_SZ_EEENS8_IJLi3ELi4EEEElEEiEELb0EEEvPKT0_PKT1_T2_PT3_T4_T5_T6_T7_T8_T9_T10_T11_.num_agpr, 0
	.set _ZN2ck35kernel_gemm_multiple_d_xdl_cshuffleINS_34GridwiseGemmMultipleD_xdl_cshuffleIDF16_DF16_DF16_ffNS_5TupleIJDF16_DF16_EEEDF16_NS_16tensor_operation12element_wise11PassThroughES6_NS5_14AddAddFastGeluELi1ELi256ELi256ELi128ELi32ELi8ELi8ELi16ELi16ELi8ELi4ENS_8SequenceIJLi4ELi64ELi1EEEENS8_IJLi1ELi0ELi2EEEESA_Li2ELi8ELi8ELb0ELi1ES9_SA_SA_Li2ELi8ELi8ELb0ELi1ELi1ELi1ENS8_IJLi1ELi32ELi1ELi8EEEELi4ELNS_13LoopSchedulerE0ELNS_15PipelineVersionE0EDF16_Lb0EEEDF16_DF16_NS2_IJPKDF16_SG_EEEDF16_S6_S6_S7_NS_16TensorDescriptorINS2_IJNS_5EmbedINS2_IJiiEEENS2_IJiNS_17integral_constantIiLi1EEEEEELb0EEENS_11PassThroughIiEESQ_NS_7UnMergeINS2_IJiNSL_IiLi8EEEEEELb0EEESQ_EEENS2_IJNS8_IJLi0EEEENS8_IJLi1EEEENS8_IJLi2EEEENS8_IJLi4EEEENS8_IJLi3EEEEEEENS2_IJNS8_IJLi1ELi2EEEES10_SZ_NS8_IJLi5ELi6EEEENS8_IJLi7EEEEEEENS8_IJLi5ELi7ELi6EEEElEES17_NS2_IJNSI_INS2_IJSO_SQ_SQ_NSR_INS2_IJiNSL_IiLi256EEEEEELb0EEENSR_INS2_IJiNSL_IiLi128EEEEEELb0EEEEEENS2_IJSW_SX_SY_S10_SZ_EEENS2_IJS12_S10_SZ_S13_NS8_IJLi7ELi8EEEEEEENS8_IJLi5ELi6ELi7ELi8EEEElEES1J_EEES1J_NS_31BlockToCTileMap_M00_N0_M01AdaptILi256ELi128ENSI_INS2_IJSO_SQ_SQ_EEENS2_IJSW_SX_SY_EEENS2_IJS12_S10_SZ_EEENS8_IJLi3ELi4EEEElEEiEELb0EEEvPKT0_PKT1_T2_PT3_T4_T5_T6_T7_T8_T9_T10_T11_.numbered_sgpr, 27
	.set _ZN2ck35kernel_gemm_multiple_d_xdl_cshuffleINS_34GridwiseGemmMultipleD_xdl_cshuffleIDF16_DF16_DF16_ffNS_5TupleIJDF16_DF16_EEEDF16_NS_16tensor_operation12element_wise11PassThroughES6_NS5_14AddAddFastGeluELi1ELi256ELi256ELi128ELi32ELi8ELi8ELi16ELi16ELi8ELi4ENS_8SequenceIJLi4ELi64ELi1EEEENS8_IJLi1ELi0ELi2EEEESA_Li2ELi8ELi8ELb0ELi1ES9_SA_SA_Li2ELi8ELi8ELb0ELi1ELi1ELi1ENS8_IJLi1ELi32ELi1ELi8EEEELi4ELNS_13LoopSchedulerE0ELNS_15PipelineVersionE0EDF16_Lb0EEEDF16_DF16_NS2_IJPKDF16_SG_EEEDF16_S6_S6_S7_NS_16TensorDescriptorINS2_IJNS_5EmbedINS2_IJiiEEENS2_IJiNS_17integral_constantIiLi1EEEEEELb0EEENS_11PassThroughIiEESQ_NS_7UnMergeINS2_IJiNSL_IiLi8EEEEEELb0EEESQ_EEENS2_IJNS8_IJLi0EEEENS8_IJLi1EEEENS8_IJLi2EEEENS8_IJLi4EEEENS8_IJLi3EEEEEEENS2_IJNS8_IJLi1ELi2EEEES10_SZ_NS8_IJLi5ELi6EEEENS8_IJLi7EEEEEEENS8_IJLi5ELi7ELi6EEEElEES17_NS2_IJNSI_INS2_IJSO_SQ_SQ_NSR_INS2_IJiNSL_IiLi256EEEEEELb0EEENSR_INS2_IJiNSL_IiLi128EEEEEELb0EEEEEENS2_IJSW_SX_SY_S10_SZ_EEENS2_IJS12_S10_SZ_S13_NS8_IJLi7ELi8EEEEEEENS8_IJLi5ELi6ELi7ELi8EEEElEES1J_EEES1J_NS_31BlockToCTileMap_M00_N0_M01AdaptILi256ELi128ENSI_INS2_IJSO_SQ_SQ_EEENS2_IJSW_SX_SY_EEENS2_IJS12_S10_SZ_EEENS8_IJLi3ELi4EEEElEEiEELb0EEEvPKT0_PKT1_T2_PT3_T4_T5_T6_T7_T8_T9_T10_T11_.num_named_barrier, 0
	.set _ZN2ck35kernel_gemm_multiple_d_xdl_cshuffleINS_34GridwiseGemmMultipleD_xdl_cshuffleIDF16_DF16_DF16_ffNS_5TupleIJDF16_DF16_EEEDF16_NS_16tensor_operation12element_wise11PassThroughES6_NS5_14AddAddFastGeluELi1ELi256ELi256ELi128ELi32ELi8ELi8ELi16ELi16ELi8ELi4ENS_8SequenceIJLi4ELi64ELi1EEEENS8_IJLi1ELi0ELi2EEEESA_Li2ELi8ELi8ELb0ELi1ES9_SA_SA_Li2ELi8ELi8ELb0ELi1ELi1ELi1ENS8_IJLi1ELi32ELi1ELi8EEEELi4ELNS_13LoopSchedulerE0ELNS_15PipelineVersionE0EDF16_Lb0EEEDF16_DF16_NS2_IJPKDF16_SG_EEEDF16_S6_S6_S7_NS_16TensorDescriptorINS2_IJNS_5EmbedINS2_IJiiEEENS2_IJiNS_17integral_constantIiLi1EEEEEELb0EEENS_11PassThroughIiEESQ_NS_7UnMergeINS2_IJiNSL_IiLi8EEEEEELb0EEESQ_EEENS2_IJNS8_IJLi0EEEENS8_IJLi1EEEENS8_IJLi2EEEENS8_IJLi4EEEENS8_IJLi3EEEEEEENS2_IJNS8_IJLi1ELi2EEEES10_SZ_NS8_IJLi5ELi6EEEENS8_IJLi7EEEEEEENS8_IJLi5ELi7ELi6EEEElEES17_NS2_IJNSI_INS2_IJSO_SQ_SQ_NSR_INS2_IJiNSL_IiLi256EEEEEELb0EEENSR_INS2_IJiNSL_IiLi128EEEEEELb0EEEEEENS2_IJSW_SX_SY_S10_SZ_EEENS2_IJS12_S10_SZ_S13_NS8_IJLi7ELi8EEEEEEENS8_IJLi5ELi6ELi7ELi8EEEElEES1J_EEES1J_NS_31BlockToCTileMap_M00_N0_M01AdaptILi256ELi128ENSI_INS2_IJSO_SQ_SQ_EEENS2_IJSW_SX_SY_EEENS2_IJS12_S10_SZ_EEENS8_IJLi3ELi4EEEElEEiEELb0EEEvPKT0_PKT1_T2_PT3_T4_T5_T6_T7_T8_T9_T10_T11_.private_seg_size, 0
	.set _ZN2ck35kernel_gemm_multiple_d_xdl_cshuffleINS_34GridwiseGemmMultipleD_xdl_cshuffleIDF16_DF16_DF16_ffNS_5TupleIJDF16_DF16_EEEDF16_NS_16tensor_operation12element_wise11PassThroughES6_NS5_14AddAddFastGeluELi1ELi256ELi256ELi128ELi32ELi8ELi8ELi16ELi16ELi8ELi4ENS_8SequenceIJLi4ELi64ELi1EEEENS8_IJLi1ELi0ELi2EEEESA_Li2ELi8ELi8ELb0ELi1ES9_SA_SA_Li2ELi8ELi8ELb0ELi1ELi1ELi1ENS8_IJLi1ELi32ELi1ELi8EEEELi4ELNS_13LoopSchedulerE0ELNS_15PipelineVersionE0EDF16_Lb0EEEDF16_DF16_NS2_IJPKDF16_SG_EEEDF16_S6_S6_S7_NS_16TensorDescriptorINS2_IJNS_5EmbedINS2_IJiiEEENS2_IJiNS_17integral_constantIiLi1EEEEEELb0EEENS_11PassThroughIiEESQ_NS_7UnMergeINS2_IJiNSL_IiLi8EEEEEELb0EEESQ_EEENS2_IJNS8_IJLi0EEEENS8_IJLi1EEEENS8_IJLi2EEEENS8_IJLi4EEEENS8_IJLi3EEEEEEENS2_IJNS8_IJLi1ELi2EEEES10_SZ_NS8_IJLi5ELi6EEEENS8_IJLi7EEEEEEENS8_IJLi5ELi7ELi6EEEElEES17_NS2_IJNSI_INS2_IJSO_SQ_SQ_NSR_INS2_IJiNSL_IiLi256EEEEEELb0EEENSR_INS2_IJiNSL_IiLi128EEEEEELb0EEEEEENS2_IJSW_SX_SY_S10_SZ_EEENS2_IJS12_S10_SZ_S13_NS8_IJLi7ELi8EEEEEEENS8_IJLi5ELi6ELi7ELi8EEEElEES1J_EEES1J_NS_31BlockToCTileMap_M00_N0_M01AdaptILi256ELi128ENSI_INS2_IJSO_SQ_SQ_EEENS2_IJSW_SX_SY_EEENS2_IJS12_S10_SZ_EEENS8_IJLi3ELi4EEEElEEiEELb0EEEvPKT0_PKT1_T2_PT3_T4_T5_T6_T7_T8_T9_T10_T11_.uses_vcc, 1
	.set _ZN2ck35kernel_gemm_multiple_d_xdl_cshuffleINS_34GridwiseGemmMultipleD_xdl_cshuffleIDF16_DF16_DF16_ffNS_5TupleIJDF16_DF16_EEEDF16_NS_16tensor_operation12element_wise11PassThroughES6_NS5_14AddAddFastGeluELi1ELi256ELi256ELi128ELi32ELi8ELi8ELi16ELi16ELi8ELi4ENS_8SequenceIJLi4ELi64ELi1EEEENS8_IJLi1ELi0ELi2EEEESA_Li2ELi8ELi8ELb0ELi1ES9_SA_SA_Li2ELi8ELi8ELb0ELi1ELi1ELi1ENS8_IJLi1ELi32ELi1ELi8EEEELi4ELNS_13LoopSchedulerE0ELNS_15PipelineVersionE0EDF16_Lb0EEEDF16_DF16_NS2_IJPKDF16_SG_EEEDF16_S6_S6_S7_NS_16TensorDescriptorINS2_IJNS_5EmbedINS2_IJiiEEENS2_IJiNS_17integral_constantIiLi1EEEEEELb0EEENS_11PassThroughIiEESQ_NS_7UnMergeINS2_IJiNSL_IiLi8EEEEEELb0EEESQ_EEENS2_IJNS8_IJLi0EEEENS8_IJLi1EEEENS8_IJLi2EEEENS8_IJLi4EEEENS8_IJLi3EEEEEEENS2_IJNS8_IJLi1ELi2EEEES10_SZ_NS8_IJLi5ELi6EEEENS8_IJLi7EEEEEEENS8_IJLi5ELi7ELi6EEEElEES17_NS2_IJNSI_INS2_IJSO_SQ_SQ_NSR_INS2_IJiNSL_IiLi256EEEEEELb0EEENSR_INS2_IJiNSL_IiLi128EEEEEELb0EEEEEENS2_IJSW_SX_SY_S10_SZ_EEENS2_IJS12_S10_SZ_S13_NS8_IJLi7ELi8EEEEEEENS8_IJLi5ELi6ELi7ELi8EEEElEES1J_EEES1J_NS_31BlockToCTileMap_M00_N0_M01AdaptILi256ELi128ENSI_INS2_IJSO_SQ_SQ_EEENS2_IJSW_SX_SY_EEENS2_IJS12_S10_SZ_EEENS8_IJLi3ELi4EEEElEEiEELb0EEEvPKT0_PKT1_T2_PT3_T4_T5_T6_T7_T8_T9_T10_T11_.uses_flat_scratch, 0
	.set _ZN2ck35kernel_gemm_multiple_d_xdl_cshuffleINS_34GridwiseGemmMultipleD_xdl_cshuffleIDF16_DF16_DF16_ffNS_5TupleIJDF16_DF16_EEEDF16_NS_16tensor_operation12element_wise11PassThroughES6_NS5_14AddAddFastGeluELi1ELi256ELi256ELi128ELi32ELi8ELi8ELi16ELi16ELi8ELi4ENS_8SequenceIJLi4ELi64ELi1EEEENS8_IJLi1ELi0ELi2EEEESA_Li2ELi8ELi8ELb0ELi1ES9_SA_SA_Li2ELi8ELi8ELb0ELi1ELi1ELi1ENS8_IJLi1ELi32ELi1ELi8EEEELi4ELNS_13LoopSchedulerE0ELNS_15PipelineVersionE0EDF16_Lb0EEEDF16_DF16_NS2_IJPKDF16_SG_EEEDF16_S6_S6_S7_NS_16TensorDescriptorINS2_IJNS_5EmbedINS2_IJiiEEENS2_IJiNS_17integral_constantIiLi1EEEEEELb0EEENS_11PassThroughIiEESQ_NS_7UnMergeINS2_IJiNSL_IiLi8EEEEEELb0EEESQ_EEENS2_IJNS8_IJLi0EEEENS8_IJLi1EEEENS8_IJLi2EEEENS8_IJLi4EEEENS8_IJLi3EEEEEEENS2_IJNS8_IJLi1ELi2EEEES10_SZ_NS8_IJLi5ELi6EEEENS8_IJLi7EEEEEEENS8_IJLi5ELi7ELi6EEEElEES17_NS2_IJNSI_INS2_IJSO_SQ_SQ_NSR_INS2_IJiNSL_IiLi256EEEEEELb0EEENSR_INS2_IJiNSL_IiLi128EEEEEELb0EEEEEENS2_IJSW_SX_SY_S10_SZ_EEENS2_IJS12_S10_SZ_S13_NS8_IJLi7ELi8EEEEEEENS8_IJLi5ELi6ELi7ELi8EEEElEES1J_EEES1J_NS_31BlockToCTileMap_M00_N0_M01AdaptILi256ELi128ENSI_INS2_IJSO_SQ_SQ_EEENS2_IJSW_SX_SY_EEENS2_IJS12_S10_SZ_EEENS8_IJLi3ELi4EEEElEEiEELb0EEEvPKT0_PKT1_T2_PT3_T4_T5_T6_T7_T8_T9_T10_T11_.has_dyn_sized_stack, 0
	.set _ZN2ck35kernel_gemm_multiple_d_xdl_cshuffleINS_34GridwiseGemmMultipleD_xdl_cshuffleIDF16_DF16_DF16_ffNS_5TupleIJDF16_DF16_EEEDF16_NS_16tensor_operation12element_wise11PassThroughES6_NS5_14AddAddFastGeluELi1ELi256ELi256ELi128ELi32ELi8ELi8ELi16ELi16ELi8ELi4ENS_8SequenceIJLi4ELi64ELi1EEEENS8_IJLi1ELi0ELi2EEEESA_Li2ELi8ELi8ELb0ELi1ES9_SA_SA_Li2ELi8ELi8ELb0ELi1ELi1ELi1ENS8_IJLi1ELi32ELi1ELi8EEEELi4ELNS_13LoopSchedulerE0ELNS_15PipelineVersionE0EDF16_Lb0EEEDF16_DF16_NS2_IJPKDF16_SG_EEEDF16_S6_S6_S7_NS_16TensorDescriptorINS2_IJNS_5EmbedINS2_IJiiEEENS2_IJiNS_17integral_constantIiLi1EEEEEELb0EEENS_11PassThroughIiEESQ_NS_7UnMergeINS2_IJiNSL_IiLi8EEEEEELb0EEESQ_EEENS2_IJNS8_IJLi0EEEENS8_IJLi1EEEENS8_IJLi2EEEENS8_IJLi4EEEENS8_IJLi3EEEEEEENS2_IJNS8_IJLi1ELi2EEEES10_SZ_NS8_IJLi5ELi6EEEENS8_IJLi7EEEEEEENS8_IJLi5ELi7ELi6EEEElEES17_NS2_IJNSI_INS2_IJSO_SQ_SQ_NSR_INS2_IJiNSL_IiLi256EEEEEELb0EEENSR_INS2_IJiNSL_IiLi128EEEEEELb0EEEEEENS2_IJSW_SX_SY_S10_SZ_EEENS2_IJS12_S10_SZ_S13_NS8_IJLi7ELi8EEEEEEENS8_IJLi5ELi6ELi7ELi8EEEElEES1J_EEES1J_NS_31BlockToCTileMap_M00_N0_M01AdaptILi256ELi128ENSI_INS2_IJSO_SQ_SQ_EEENS2_IJSW_SX_SY_EEENS2_IJS12_S10_SZ_EEENS8_IJLi3ELi4EEEElEEiEELb0EEEvPKT0_PKT1_T2_PT3_T4_T5_T6_T7_T8_T9_T10_T11_.has_recursion, 0
	.set _ZN2ck35kernel_gemm_multiple_d_xdl_cshuffleINS_34GridwiseGemmMultipleD_xdl_cshuffleIDF16_DF16_DF16_ffNS_5TupleIJDF16_DF16_EEEDF16_NS_16tensor_operation12element_wise11PassThroughES6_NS5_14AddAddFastGeluELi1ELi256ELi256ELi128ELi32ELi8ELi8ELi16ELi16ELi8ELi4ENS_8SequenceIJLi4ELi64ELi1EEEENS8_IJLi1ELi0ELi2EEEESA_Li2ELi8ELi8ELb0ELi1ES9_SA_SA_Li2ELi8ELi8ELb0ELi1ELi1ELi1ENS8_IJLi1ELi32ELi1ELi8EEEELi4ELNS_13LoopSchedulerE0ELNS_15PipelineVersionE0EDF16_Lb0EEEDF16_DF16_NS2_IJPKDF16_SG_EEEDF16_S6_S6_S7_NS_16TensorDescriptorINS2_IJNS_5EmbedINS2_IJiiEEENS2_IJiNS_17integral_constantIiLi1EEEEEELb0EEENS_11PassThroughIiEESQ_NS_7UnMergeINS2_IJiNSL_IiLi8EEEEEELb0EEESQ_EEENS2_IJNS8_IJLi0EEEENS8_IJLi1EEEENS8_IJLi2EEEENS8_IJLi4EEEENS8_IJLi3EEEEEEENS2_IJNS8_IJLi1ELi2EEEES10_SZ_NS8_IJLi5ELi6EEEENS8_IJLi7EEEEEEENS8_IJLi5ELi7ELi6EEEElEES17_NS2_IJNSI_INS2_IJSO_SQ_SQ_NSR_INS2_IJiNSL_IiLi256EEEEEELb0EEENSR_INS2_IJiNSL_IiLi128EEEEEELb0EEEEEENS2_IJSW_SX_SY_S10_SZ_EEENS2_IJS12_S10_SZ_S13_NS8_IJLi7ELi8EEEEEEENS8_IJLi5ELi6ELi7ELi8EEEElEES1J_EEES1J_NS_31BlockToCTileMap_M00_N0_M01AdaptILi256ELi128ENSI_INS2_IJSO_SQ_SQ_EEENS2_IJSW_SX_SY_EEENS2_IJS12_S10_SZ_EEENS8_IJLi3ELi4EEEElEEiEELb0EEEvPKT0_PKT1_T2_PT3_T4_T5_T6_T7_T8_T9_T10_T11_.has_indirect_call, 0
	.section	.AMDGPU.csdata,"",@progbits
; Kernel info:
; codeLenInByte = 24376
; TotalNumSgprs: 33
; NumVgprs: 75
; NumAgprs: 0
; TotalNumVgprs: 75
; ScratchSize: 0
; MemoryBound: 0
; FloatMode: 240
; IeeeMode: 1
; LDSByteSize: 24672 bytes/workgroup (compile time only)
; SGPRBlocks: 12
; VGPRBlocks: 9
; NumSGPRsForWavesPerEU: 97
; NumVGPRsForWavesPerEU: 75
; AccumOffset: 76
; Occupancy: 6
; WaveLimiterHint : 0
; COMPUTE_PGM_RSRC2:SCRATCH_EN: 0
; COMPUTE_PGM_RSRC2:USER_SGPR: 2
; COMPUTE_PGM_RSRC2:TRAP_HANDLER: 0
; COMPUTE_PGM_RSRC2:TGID_X_EN: 1
; COMPUTE_PGM_RSRC2:TGID_Y_EN: 0
; COMPUTE_PGM_RSRC2:TGID_Z_EN: 0
; COMPUTE_PGM_RSRC2:TIDIG_COMP_CNT: 0
; COMPUTE_PGM_RSRC3_GFX90A:ACCUM_OFFSET: 18
; COMPUTE_PGM_RSRC3_GFX90A:TG_SPLIT: 0
	.section	.text._ZN2ck35kernel_gemm_multiple_d_xdl_cshuffleINS_34GridwiseGemmMultipleD_xdl_cshuffleIDF16_DF16_DF16_ffNS_5TupleIJDF16_DF16_EEEDF16_NS_16tensor_operation12element_wise11PassThroughES6_NS5_14AddAddFastGeluELi1ELi256ELi256ELi128ELi32ELi8ELi8ELi16ELi16ELi8ELi2ENS_8SequenceIJLi4ELi64ELi1EEEENS8_IJLi1ELi0ELi2EEEESA_Li2ELi8ELi8ELb0ELi1ES9_SA_SA_Li2ELi8ELi8ELb0ELi1ELi1ELi1ENS8_IJLi1ELi32ELi1ELi8EEEELi4ELNS_13LoopSchedulerE0ELNS_15PipelineVersionE0EDF16_Lb0EEEDF16_DF16_NS2_IJPKDF16_SG_EEEDF16_S6_S6_S7_NS_16TensorDescriptorINS2_IJNS_5EmbedINS2_IJiiEEENS2_IJiNS_17integral_constantIiLi1EEEEEELb0EEENS_11PassThroughIiEESQ_NS_7UnMergeINS2_IJiNSL_IiLi8EEEEEELb0EEESQ_EEENS2_IJNS8_IJLi0EEEENS8_IJLi1EEEENS8_IJLi2EEEENS8_IJLi4EEEENS8_IJLi3EEEEEEENS2_IJNS8_IJLi1ELi2EEEES10_SZ_NS8_IJLi5ELi6EEEENS8_IJLi7EEEEEEENS8_IJLi5ELi7ELi6EEEElEES17_NS2_IJNSI_INS2_IJSO_SQ_SQ_NSR_INS2_IJiNSL_IiLi256EEEEEELb0EEENSR_INS2_IJiNSL_IiLi128EEEEEELb0EEEEEENS2_IJSW_SX_SY_S10_SZ_EEENS2_IJS12_S10_SZ_S13_NS8_IJLi7ELi8EEEEEEENS8_IJLi5ELi6ELi7ELi8EEEElEES1J_EEES1J_NS_31BlockToCTileMap_M00_N0_M01AdaptILi256ELi128ENSI_INS2_IJSO_SQ_SQ_EEENS2_IJSW_SX_SY_EEENS2_IJS12_S10_SZ_EEENS8_IJLi3ELi4EEEElEEiEELb1EEEvPKT0_PKT1_T2_PT3_T4_T5_T6_T7_T8_T9_T10_T11_,"axG",@progbits,_ZN2ck35kernel_gemm_multiple_d_xdl_cshuffleINS_34GridwiseGemmMultipleD_xdl_cshuffleIDF16_DF16_DF16_ffNS_5TupleIJDF16_DF16_EEEDF16_NS_16tensor_operation12element_wise11PassThroughES6_NS5_14AddAddFastGeluELi1ELi256ELi256ELi128ELi32ELi8ELi8ELi16ELi16ELi8ELi2ENS_8SequenceIJLi4ELi64ELi1EEEENS8_IJLi1ELi0ELi2EEEESA_Li2ELi8ELi8ELb0ELi1ES9_SA_SA_Li2ELi8ELi8ELb0ELi1ELi1ELi1ENS8_IJLi1ELi32ELi1ELi8EEEELi4ELNS_13LoopSchedulerE0ELNS_15PipelineVersionE0EDF16_Lb0EEEDF16_DF16_NS2_IJPKDF16_SG_EEEDF16_S6_S6_S7_NS_16TensorDescriptorINS2_IJNS_5EmbedINS2_IJiiEEENS2_IJiNS_17integral_constantIiLi1EEEEEELb0EEENS_11PassThroughIiEESQ_NS_7UnMergeINS2_IJiNSL_IiLi8EEEEEELb0EEESQ_EEENS2_IJNS8_IJLi0EEEENS8_IJLi1EEEENS8_IJLi2EEEENS8_IJLi4EEEENS8_IJLi3EEEEEEENS2_IJNS8_IJLi1ELi2EEEES10_SZ_NS8_IJLi5ELi6EEEENS8_IJLi7EEEEEEENS8_IJLi5ELi7ELi6EEEElEES17_NS2_IJNSI_INS2_IJSO_SQ_SQ_NSR_INS2_IJiNSL_IiLi256EEEEEELb0EEENSR_INS2_IJiNSL_IiLi128EEEEEELb0EEEEEENS2_IJSW_SX_SY_S10_SZ_EEENS2_IJS12_S10_SZ_S13_NS8_IJLi7ELi8EEEEEEENS8_IJLi5ELi6ELi7ELi8EEEElEES1J_EEES1J_NS_31BlockToCTileMap_M00_N0_M01AdaptILi256ELi128ENSI_INS2_IJSO_SQ_SQ_EEENS2_IJSW_SX_SY_EEENS2_IJS12_S10_SZ_EEENS8_IJLi3ELi4EEEElEEiEELb1EEEvPKT0_PKT1_T2_PT3_T4_T5_T6_T7_T8_T9_T10_T11_,comdat
	.protected	_ZN2ck35kernel_gemm_multiple_d_xdl_cshuffleINS_34GridwiseGemmMultipleD_xdl_cshuffleIDF16_DF16_DF16_ffNS_5TupleIJDF16_DF16_EEEDF16_NS_16tensor_operation12element_wise11PassThroughES6_NS5_14AddAddFastGeluELi1ELi256ELi256ELi128ELi32ELi8ELi8ELi16ELi16ELi8ELi2ENS_8SequenceIJLi4ELi64ELi1EEEENS8_IJLi1ELi0ELi2EEEESA_Li2ELi8ELi8ELb0ELi1ES9_SA_SA_Li2ELi8ELi8ELb0ELi1ELi1ELi1ENS8_IJLi1ELi32ELi1ELi8EEEELi4ELNS_13LoopSchedulerE0ELNS_15PipelineVersionE0EDF16_Lb0EEEDF16_DF16_NS2_IJPKDF16_SG_EEEDF16_S6_S6_S7_NS_16TensorDescriptorINS2_IJNS_5EmbedINS2_IJiiEEENS2_IJiNS_17integral_constantIiLi1EEEEEELb0EEENS_11PassThroughIiEESQ_NS_7UnMergeINS2_IJiNSL_IiLi8EEEEEELb0EEESQ_EEENS2_IJNS8_IJLi0EEEENS8_IJLi1EEEENS8_IJLi2EEEENS8_IJLi4EEEENS8_IJLi3EEEEEEENS2_IJNS8_IJLi1ELi2EEEES10_SZ_NS8_IJLi5ELi6EEEENS8_IJLi7EEEEEEENS8_IJLi5ELi7ELi6EEEElEES17_NS2_IJNSI_INS2_IJSO_SQ_SQ_NSR_INS2_IJiNSL_IiLi256EEEEEELb0EEENSR_INS2_IJiNSL_IiLi128EEEEEELb0EEEEEENS2_IJSW_SX_SY_S10_SZ_EEENS2_IJS12_S10_SZ_S13_NS8_IJLi7ELi8EEEEEEENS8_IJLi5ELi6ELi7ELi8EEEElEES1J_EEES1J_NS_31BlockToCTileMap_M00_N0_M01AdaptILi256ELi128ENSI_INS2_IJSO_SQ_SQ_EEENS2_IJSW_SX_SY_EEENS2_IJS12_S10_SZ_EEENS8_IJLi3ELi4EEEElEEiEELb1EEEvPKT0_PKT1_T2_PT3_T4_T5_T6_T7_T8_T9_T10_T11_ ; -- Begin function _ZN2ck35kernel_gemm_multiple_d_xdl_cshuffleINS_34GridwiseGemmMultipleD_xdl_cshuffleIDF16_DF16_DF16_ffNS_5TupleIJDF16_DF16_EEEDF16_NS_16tensor_operation12element_wise11PassThroughES6_NS5_14AddAddFastGeluELi1ELi256ELi256ELi128ELi32ELi8ELi8ELi16ELi16ELi8ELi2ENS_8SequenceIJLi4ELi64ELi1EEEENS8_IJLi1ELi0ELi2EEEESA_Li2ELi8ELi8ELb0ELi1ES9_SA_SA_Li2ELi8ELi8ELb0ELi1ELi1ELi1ENS8_IJLi1ELi32ELi1ELi8EEEELi4ELNS_13LoopSchedulerE0ELNS_15PipelineVersionE0EDF16_Lb0EEEDF16_DF16_NS2_IJPKDF16_SG_EEEDF16_S6_S6_S7_NS_16TensorDescriptorINS2_IJNS_5EmbedINS2_IJiiEEENS2_IJiNS_17integral_constantIiLi1EEEEEELb0EEENS_11PassThroughIiEESQ_NS_7UnMergeINS2_IJiNSL_IiLi8EEEEEELb0EEESQ_EEENS2_IJNS8_IJLi0EEEENS8_IJLi1EEEENS8_IJLi2EEEENS8_IJLi4EEEENS8_IJLi3EEEEEEENS2_IJNS8_IJLi1ELi2EEEES10_SZ_NS8_IJLi5ELi6EEEENS8_IJLi7EEEEEEENS8_IJLi5ELi7ELi6EEEElEES17_NS2_IJNSI_INS2_IJSO_SQ_SQ_NSR_INS2_IJiNSL_IiLi256EEEEEELb0EEENSR_INS2_IJiNSL_IiLi128EEEEEELb0EEEEEENS2_IJSW_SX_SY_S10_SZ_EEENS2_IJS12_S10_SZ_S13_NS8_IJLi7ELi8EEEEEEENS8_IJLi5ELi6ELi7ELi8EEEElEES1J_EEES1J_NS_31BlockToCTileMap_M00_N0_M01AdaptILi256ELi128ENSI_INS2_IJSO_SQ_SQ_EEENS2_IJSW_SX_SY_EEENS2_IJS12_S10_SZ_EEENS8_IJLi3ELi4EEEElEEiEELb1EEEvPKT0_PKT1_T2_PT3_T4_T5_T6_T7_T8_T9_T10_T11_
	.globl	_ZN2ck35kernel_gemm_multiple_d_xdl_cshuffleINS_34GridwiseGemmMultipleD_xdl_cshuffleIDF16_DF16_DF16_ffNS_5TupleIJDF16_DF16_EEEDF16_NS_16tensor_operation12element_wise11PassThroughES6_NS5_14AddAddFastGeluELi1ELi256ELi256ELi128ELi32ELi8ELi8ELi16ELi16ELi8ELi2ENS_8SequenceIJLi4ELi64ELi1EEEENS8_IJLi1ELi0ELi2EEEESA_Li2ELi8ELi8ELb0ELi1ES9_SA_SA_Li2ELi8ELi8ELb0ELi1ELi1ELi1ENS8_IJLi1ELi32ELi1ELi8EEEELi4ELNS_13LoopSchedulerE0ELNS_15PipelineVersionE0EDF16_Lb0EEEDF16_DF16_NS2_IJPKDF16_SG_EEEDF16_S6_S6_S7_NS_16TensorDescriptorINS2_IJNS_5EmbedINS2_IJiiEEENS2_IJiNS_17integral_constantIiLi1EEEEEELb0EEENS_11PassThroughIiEESQ_NS_7UnMergeINS2_IJiNSL_IiLi8EEEEEELb0EEESQ_EEENS2_IJNS8_IJLi0EEEENS8_IJLi1EEEENS8_IJLi2EEEENS8_IJLi4EEEENS8_IJLi3EEEEEEENS2_IJNS8_IJLi1ELi2EEEES10_SZ_NS8_IJLi5ELi6EEEENS8_IJLi7EEEEEEENS8_IJLi5ELi7ELi6EEEElEES17_NS2_IJNSI_INS2_IJSO_SQ_SQ_NSR_INS2_IJiNSL_IiLi256EEEEEELb0EEENSR_INS2_IJiNSL_IiLi128EEEEEELb0EEEEEENS2_IJSW_SX_SY_S10_SZ_EEENS2_IJS12_S10_SZ_S13_NS8_IJLi7ELi8EEEEEEENS8_IJLi5ELi6ELi7ELi8EEEElEES1J_EEES1J_NS_31BlockToCTileMap_M00_N0_M01AdaptILi256ELi128ENSI_INS2_IJSO_SQ_SQ_EEENS2_IJSW_SX_SY_EEENS2_IJS12_S10_SZ_EEENS8_IJLi3ELi4EEEElEEiEELb1EEEvPKT0_PKT1_T2_PT3_T4_T5_T6_T7_T8_T9_T10_T11_
	.p2align	8
	.type	_ZN2ck35kernel_gemm_multiple_d_xdl_cshuffleINS_34GridwiseGemmMultipleD_xdl_cshuffleIDF16_DF16_DF16_ffNS_5TupleIJDF16_DF16_EEEDF16_NS_16tensor_operation12element_wise11PassThroughES6_NS5_14AddAddFastGeluELi1ELi256ELi256ELi128ELi32ELi8ELi8ELi16ELi16ELi8ELi2ENS_8SequenceIJLi4ELi64ELi1EEEENS8_IJLi1ELi0ELi2EEEESA_Li2ELi8ELi8ELb0ELi1ES9_SA_SA_Li2ELi8ELi8ELb0ELi1ELi1ELi1ENS8_IJLi1ELi32ELi1ELi8EEEELi4ELNS_13LoopSchedulerE0ELNS_15PipelineVersionE0EDF16_Lb0EEEDF16_DF16_NS2_IJPKDF16_SG_EEEDF16_S6_S6_S7_NS_16TensorDescriptorINS2_IJNS_5EmbedINS2_IJiiEEENS2_IJiNS_17integral_constantIiLi1EEEEEELb0EEENS_11PassThroughIiEESQ_NS_7UnMergeINS2_IJiNSL_IiLi8EEEEEELb0EEESQ_EEENS2_IJNS8_IJLi0EEEENS8_IJLi1EEEENS8_IJLi2EEEENS8_IJLi4EEEENS8_IJLi3EEEEEEENS2_IJNS8_IJLi1ELi2EEEES10_SZ_NS8_IJLi5ELi6EEEENS8_IJLi7EEEEEEENS8_IJLi5ELi7ELi6EEEElEES17_NS2_IJNSI_INS2_IJSO_SQ_SQ_NSR_INS2_IJiNSL_IiLi256EEEEEELb0EEENSR_INS2_IJiNSL_IiLi128EEEEEELb0EEEEEENS2_IJSW_SX_SY_S10_SZ_EEENS2_IJS12_S10_SZ_S13_NS8_IJLi7ELi8EEEEEEENS8_IJLi5ELi6ELi7ELi8EEEElEES1J_EEES1J_NS_31BlockToCTileMap_M00_N0_M01AdaptILi256ELi128ENSI_INS2_IJSO_SQ_SQ_EEENS2_IJSW_SX_SY_EEENS2_IJS12_S10_SZ_EEENS8_IJLi3ELi4EEEElEEiEELb1EEEvPKT0_PKT1_T2_PT3_T4_T5_T6_T7_T8_T9_T10_T11_,@function
_ZN2ck35kernel_gemm_multiple_d_xdl_cshuffleINS_34GridwiseGemmMultipleD_xdl_cshuffleIDF16_DF16_DF16_ffNS_5TupleIJDF16_DF16_EEEDF16_NS_16tensor_operation12element_wise11PassThroughES6_NS5_14AddAddFastGeluELi1ELi256ELi256ELi128ELi32ELi8ELi8ELi16ELi16ELi8ELi2ENS_8SequenceIJLi4ELi64ELi1EEEENS8_IJLi1ELi0ELi2EEEESA_Li2ELi8ELi8ELb0ELi1ES9_SA_SA_Li2ELi8ELi8ELb0ELi1ELi1ELi1ENS8_IJLi1ELi32ELi1ELi8EEEELi4ELNS_13LoopSchedulerE0ELNS_15PipelineVersionE0EDF16_Lb0EEEDF16_DF16_NS2_IJPKDF16_SG_EEEDF16_S6_S6_S7_NS_16TensorDescriptorINS2_IJNS_5EmbedINS2_IJiiEEENS2_IJiNS_17integral_constantIiLi1EEEEEELb0EEENS_11PassThroughIiEESQ_NS_7UnMergeINS2_IJiNSL_IiLi8EEEEEELb0EEESQ_EEENS2_IJNS8_IJLi0EEEENS8_IJLi1EEEENS8_IJLi2EEEENS8_IJLi4EEEENS8_IJLi3EEEEEEENS2_IJNS8_IJLi1ELi2EEEES10_SZ_NS8_IJLi5ELi6EEEENS8_IJLi7EEEEEEENS8_IJLi5ELi7ELi6EEEElEES17_NS2_IJNSI_INS2_IJSO_SQ_SQ_NSR_INS2_IJiNSL_IiLi256EEEEEELb0EEENSR_INS2_IJiNSL_IiLi128EEEEEELb0EEEEEENS2_IJSW_SX_SY_S10_SZ_EEENS2_IJS12_S10_SZ_S13_NS8_IJLi7ELi8EEEEEEENS8_IJLi5ELi6ELi7ELi8EEEElEES1J_EEES1J_NS_31BlockToCTileMap_M00_N0_M01AdaptILi256ELi128ENSI_INS2_IJSO_SQ_SQ_EEENS2_IJSW_SX_SY_EEENS2_IJS12_S10_SZ_EEENS8_IJLi3ELi4EEEElEEiEELb1EEEvPKT0_PKT1_T2_PT3_T4_T5_T6_T7_T8_T9_T10_T11_: ; @_ZN2ck35kernel_gemm_multiple_d_xdl_cshuffleINS_34GridwiseGemmMultipleD_xdl_cshuffleIDF16_DF16_DF16_ffNS_5TupleIJDF16_DF16_EEEDF16_NS_16tensor_operation12element_wise11PassThroughES6_NS5_14AddAddFastGeluELi1ELi256ELi256ELi128ELi32ELi8ELi8ELi16ELi16ELi8ELi2ENS_8SequenceIJLi4ELi64ELi1EEEENS8_IJLi1ELi0ELi2EEEESA_Li2ELi8ELi8ELb0ELi1ES9_SA_SA_Li2ELi8ELi8ELb0ELi1ELi1ELi1ENS8_IJLi1ELi32ELi1ELi8EEEELi4ELNS_13LoopSchedulerE0ELNS_15PipelineVersionE0EDF16_Lb0EEEDF16_DF16_NS2_IJPKDF16_SG_EEEDF16_S6_S6_S7_NS_16TensorDescriptorINS2_IJNS_5EmbedINS2_IJiiEEENS2_IJiNS_17integral_constantIiLi1EEEEEELb0EEENS_11PassThroughIiEESQ_NS_7UnMergeINS2_IJiNSL_IiLi8EEEEEELb0EEESQ_EEENS2_IJNS8_IJLi0EEEENS8_IJLi1EEEENS8_IJLi2EEEENS8_IJLi4EEEENS8_IJLi3EEEEEEENS2_IJNS8_IJLi1ELi2EEEES10_SZ_NS8_IJLi5ELi6EEEENS8_IJLi7EEEEEEENS8_IJLi5ELi7ELi6EEEElEES17_NS2_IJNSI_INS2_IJSO_SQ_SQ_NSR_INS2_IJiNSL_IiLi256EEEEEELb0EEENSR_INS2_IJiNSL_IiLi128EEEEEELb0EEEEEENS2_IJSW_SX_SY_S10_SZ_EEENS2_IJS12_S10_SZ_S13_NS8_IJLi7ELi8EEEEEEENS8_IJLi5ELi6ELi7ELi8EEEElEES1J_EEES1J_NS_31BlockToCTileMap_M00_N0_M01AdaptILi256ELi128ENSI_INS2_IJSO_SQ_SQ_EEENS2_IJSW_SX_SY_EEENS2_IJS12_S10_SZ_EEENS8_IJLi3ELi4EEEElEEiEELb1EEEvPKT0_PKT1_T2_PT3_T4_T5_T6_T7_T8_T9_T10_T11_
; %bb.0:
	s_endpgm
	.section	.rodata,"a",@progbits
	.p2align	6, 0x0
	.amdhsa_kernel _ZN2ck35kernel_gemm_multiple_d_xdl_cshuffleINS_34GridwiseGemmMultipleD_xdl_cshuffleIDF16_DF16_DF16_ffNS_5TupleIJDF16_DF16_EEEDF16_NS_16tensor_operation12element_wise11PassThroughES6_NS5_14AddAddFastGeluELi1ELi256ELi256ELi128ELi32ELi8ELi8ELi16ELi16ELi8ELi2ENS_8SequenceIJLi4ELi64ELi1EEEENS8_IJLi1ELi0ELi2EEEESA_Li2ELi8ELi8ELb0ELi1ES9_SA_SA_Li2ELi8ELi8ELb0ELi1ELi1ELi1ENS8_IJLi1ELi32ELi1ELi8EEEELi4ELNS_13LoopSchedulerE0ELNS_15PipelineVersionE0EDF16_Lb0EEEDF16_DF16_NS2_IJPKDF16_SG_EEEDF16_S6_S6_S7_NS_16TensorDescriptorINS2_IJNS_5EmbedINS2_IJiiEEENS2_IJiNS_17integral_constantIiLi1EEEEEELb0EEENS_11PassThroughIiEESQ_NS_7UnMergeINS2_IJiNSL_IiLi8EEEEEELb0EEESQ_EEENS2_IJNS8_IJLi0EEEENS8_IJLi1EEEENS8_IJLi2EEEENS8_IJLi4EEEENS8_IJLi3EEEEEEENS2_IJNS8_IJLi1ELi2EEEES10_SZ_NS8_IJLi5ELi6EEEENS8_IJLi7EEEEEEENS8_IJLi5ELi7ELi6EEEElEES17_NS2_IJNSI_INS2_IJSO_SQ_SQ_NSR_INS2_IJiNSL_IiLi256EEEEEELb0EEENSR_INS2_IJiNSL_IiLi128EEEEEELb0EEEEEENS2_IJSW_SX_SY_S10_SZ_EEENS2_IJS12_S10_SZ_S13_NS8_IJLi7ELi8EEEEEEENS8_IJLi5ELi6ELi7ELi8EEEElEES1J_EEES1J_NS_31BlockToCTileMap_M00_N0_M01AdaptILi256ELi128ENSI_INS2_IJSO_SQ_SQ_EEENS2_IJSW_SX_SY_EEENS2_IJS12_S10_SZ_EEENS8_IJLi3ELi4EEEElEEiEELb1EEEvPKT0_PKT1_T2_PT3_T4_T5_T6_T7_T8_T9_T10_T11_
		.amdhsa_group_segment_fixed_size 0
		.amdhsa_private_segment_fixed_size 0
		.amdhsa_kernarg_size 364
		.amdhsa_user_sgpr_count 2
		.amdhsa_user_sgpr_dispatch_ptr 0
		.amdhsa_user_sgpr_queue_ptr 0
		.amdhsa_user_sgpr_kernarg_segment_ptr 1
		.amdhsa_user_sgpr_dispatch_id 0
		.amdhsa_user_sgpr_kernarg_preload_length 0
		.amdhsa_user_sgpr_kernarg_preload_offset 0
		.amdhsa_user_sgpr_private_segment_size 0
		.amdhsa_uses_dynamic_stack 0
		.amdhsa_enable_private_segment 0
		.amdhsa_system_sgpr_workgroup_id_x 1
		.amdhsa_system_sgpr_workgroup_id_y 0
		.amdhsa_system_sgpr_workgroup_id_z 0
		.amdhsa_system_sgpr_workgroup_info 0
		.amdhsa_system_vgpr_workitem_id 0
		.amdhsa_next_free_vgpr 1
		.amdhsa_next_free_sgpr 0
		.amdhsa_accum_offset 4
		.amdhsa_reserve_vcc 0
		.amdhsa_float_round_mode_32 0
		.amdhsa_float_round_mode_16_64 0
		.amdhsa_float_denorm_mode_32 3
		.amdhsa_float_denorm_mode_16_64 3
		.amdhsa_dx10_clamp 1
		.amdhsa_ieee_mode 1
		.amdhsa_fp16_overflow 0
		.amdhsa_tg_split 0
		.amdhsa_exception_fp_ieee_invalid_op 0
		.amdhsa_exception_fp_denorm_src 0
		.amdhsa_exception_fp_ieee_div_zero 0
		.amdhsa_exception_fp_ieee_overflow 0
		.amdhsa_exception_fp_ieee_underflow 0
		.amdhsa_exception_fp_ieee_inexact 0
		.amdhsa_exception_int_div_zero 0
	.end_amdhsa_kernel
	.section	.text._ZN2ck35kernel_gemm_multiple_d_xdl_cshuffleINS_34GridwiseGemmMultipleD_xdl_cshuffleIDF16_DF16_DF16_ffNS_5TupleIJDF16_DF16_EEEDF16_NS_16tensor_operation12element_wise11PassThroughES6_NS5_14AddAddFastGeluELi1ELi256ELi256ELi128ELi32ELi8ELi8ELi16ELi16ELi8ELi2ENS_8SequenceIJLi4ELi64ELi1EEEENS8_IJLi1ELi0ELi2EEEESA_Li2ELi8ELi8ELb0ELi1ES9_SA_SA_Li2ELi8ELi8ELb0ELi1ELi1ELi1ENS8_IJLi1ELi32ELi1ELi8EEEELi4ELNS_13LoopSchedulerE0ELNS_15PipelineVersionE0EDF16_Lb0EEEDF16_DF16_NS2_IJPKDF16_SG_EEEDF16_S6_S6_S7_NS_16TensorDescriptorINS2_IJNS_5EmbedINS2_IJiiEEENS2_IJiNS_17integral_constantIiLi1EEEEEELb0EEENS_11PassThroughIiEESQ_NS_7UnMergeINS2_IJiNSL_IiLi8EEEEEELb0EEESQ_EEENS2_IJNS8_IJLi0EEEENS8_IJLi1EEEENS8_IJLi2EEEENS8_IJLi4EEEENS8_IJLi3EEEEEEENS2_IJNS8_IJLi1ELi2EEEES10_SZ_NS8_IJLi5ELi6EEEENS8_IJLi7EEEEEEENS8_IJLi5ELi7ELi6EEEElEES17_NS2_IJNSI_INS2_IJSO_SQ_SQ_NSR_INS2_IJiNSL_IiLi256EEEEEELb0EEENSR_INS2_IJiNSL_IiLi128EEEEEELb0EEEEEENS2_IJSW_SX_SY_S10_SZ_EEENS2_IJS12_S10_SZ_S13_NS8_IJLi7ELi8EEEEEEENS8_IJLi5ELi6ELi7ELi8EEEElEES1J_EEES1J_NS_31BlockToCTileMap_M00_N0_M01AdaptILi256ELi128ENSI_INS2_IJSO_SQ_SQ_EEENS2_IJSW_SX_SY_EEENS2_IJS12_S10_SZ_EEENS8_IJLi3ELi4EEEElEEiEELb1EEEvPKT0_PKT1_T2_PT3_T4_T5_T6_T7_T8_T9_T10_T11_,"axG",@progbits,_ZN2ck35kernel_gemm_multiple_d_xdl_cshuffleINS_34GridwiseGemmMultipleD_xdl_cshuffleIDF16_DF16_DF16_ffNS_5TupleIJDF16_DF16_EEEDF16_NS_16tensor_operation12element_wise11PassThroughES6_NS5_14AddAddFastGeluELi1ELi256ELi256ELi128ELi32ELi8ELi8ELi16ELi16ELi8ELi2ENS_8SequenceIJLi4ELi64ELi1EEEENS8_IJLi1ELi0ELi2EEEESA_Li2ELi8ELi8ELb0ELi1ES9_SA_SA_Li2ELi8ELi8ELb0ELi1ELi1ELi1ENS8_IJLi1ELi32ELi1ELi8EEEELi4ELNS_13LoopSchedulerE0ELNS_15PipelineVersionE0EDF16_Lb0EEEDF16_DF16_NS2_IJPKDF16_SG_EEEDF16_S6_S6_S7_NS_16TensorDescriptorINS2_IJNS_5EmbedINS2_IJiiEEENS2_IJiNS_17integral_constantIiLi1EEEEEELb0EEENS_11PassThroughIiEESQ_NS_7UnMergeINS2_IJiNSL_IiLi8EEEEEELb0EEESQ_EEENS2_IJNS8_IJLi0EEEENS8_IJLi1EEEENS8_IJLi2EEEENS8_IJLi4EEEENS8_IJLi3EEEEEEENS2_IJNS8_IJLi1ELi2EEEES10_SZ_NS8_IJLi5ELi6EEEENS8_IJLi7EEEEEEENS8_IJLi5ELi7ELi6EEEElEES17_NS2_IJNSI_INS2_IJSO_SQ_SQ_NSR_INS2_IJiNSL_IiLi256EEEEEELb0EEENSR_INS2_IJiNSL_IiLi128EEEEEELb0EEEEEENS2_IJSW_SX_SY_S10_SZ_EEENS2_IJS12_S10_SZ_S13_NS8_IJLi7ELi8EEEEEEENS8_IJLi5ELi6ELi7ELi8EEEElEES1J_EEES1J_NS_31BlockToCTileMap_M00_N0_M01AdaptILi256ELi128ENSI_INS2_IJSO_SQ_SQ_EEENS2_IJSW_SX_SY_EEENS2_IJS12_S10_SZ_EEENS8_IJLi3ELi4EEEElEEiEELb1EEEvPKT0_PKT1_T2_PT3_T4_T5_T6_T7_T8_T9_T10_T11_,comdat
.Lfunc_end3:
	.size	_ZN2ck35kernel_gemm_multiple_d_xdl_cshuffleINS_34GridwiseGemmMultipleD_xdl_cshuffleIDF16_DF16_DF16_ffNS_5TupleIJDF16_DF16_EEEDF16_NS_16tensor_operation12element_wise11PassThroughES6_NS5_14AddAddFastGeluELi1ELi256ELi256ELi128ELi32ELi8ELi8ELi16ELi16ELi8ELi2ENS_8SequenceIJLi4ELi64ELi1EEEENS8_IJLi1ELi0ELi2EEEESA_Li2ELi8ELi8ELb0ELi1ES9_SA_SA_Li2ELi8ELi8ELb0ELi1ELi1ELi1ENS8_IJLi1ELi32ELi1ELi8EEEELi4ELNS_13LoopSchedulerE0ELNS_15PipelineVersionE0EDF16_Lb0EEEDF16_DF16_NS2_IJPKDF16_SG_EEEDF16_S6_S6_S7_NS_16TensorDescriptorINS2_IJNS_5EmbedINS2_IJiiEEENS2_IJiNS_17integral_constantIiLi1EEEEEELb0EEENS_11PassThroughIiEESQ_NS_7UnMergeINS2_IJiNSL_IiLi8EEEEEELb0EEESQ_EEENS2_IJNS8_IJLi0EEEENS8_IJLi1EEEENS8_IJLi2EEEENS8_IJLi4EEEENS8_IJLi3EEEEEEENS2_IJNS8_IJLi1ELi2EEEES10_SZ_NS8_IJLi5ELi6EEEENS8_IJLi7EEEEEEENS8_IJLi5ELi7ELi6EEEElEES17_NS2_IJNSI_INS2_IJSO_SQ_SQ_NSR_INS2_IJiNSL_IiLi256EEEEEELb0EEENSR_INS2_IJiNSL_IiLi128EEEEEELb0EEEEEENS2_IJSW_SX_SY_S10_SZ_EEENS2_IJS12_S10_SZ_S13_NS8_IJLi7ELi8EEEEEEENS8_IJLi5ELi6ELi7ELi8EEEElEES1J_EEES1J_NS_31BlockToCTileMap_M00_N0_M01AdaptILi256ELi128ENSI_INS2_IJSO_SQ_SQ_EEENS2_IJSW_SX_SY_EEENS2_IJS12_S10_SZ_EEENS8_IJLi3ELi4EEEElEEiEELb1EEEvPKT0_PKT1_T2_PT3_T4_T5_T6_T7_T8_T9_T10_T11_, .Lfunc_end3-_ZN2ck35kernel_gemm_multiple_d_xdl_cshuffleINS_34GridwiseGemmMultipleD_xdl_cshuffleIDF16_DF16_DF16_ffNS_5TupleIJDF16_DF16_EEEDF16_NS_16tensor_operation12element_wise11PassThroughES6_NS5_14AddAddFastGeluELi1ELi256ELi256ELi128ELi32ELi8ELi8ELi16ELi16ELi8ELi2ENS_8SequenceIJLi4ELi64ELi1EEEENS8_IJLi1ELi0ELi2EEEESA_Li2ELi8ELi8ELb0ELi1ES9_SA_SA_Li2ELi8ELi8ELb0ELi1ELi1ELi1ENS8_IJLi1ELi32ELi1ELi8EEEELi4ELNS_13LoopSchedulerE0ELNS_15PipelineVersionE0EDF16_Lb0EEEDF16_DF16_NS2_IJPKDF16_SG_EEEDF16_S6_S6_S7_NS_16TensorDescriptorINS2_IJNS_5EmbedINS2_IJiiEEENS2_IJiNS_17integral_constantIiLi1EEEEEELb0EEENS_11PassThroughIiEESQ_NS_7UnMergeINS2_IJiNSL_IiLi8EEEEEELb0EEESQ_EEENS2_IJNS8_IJLi0EEEENS8_IJLi1EEEENS8_IJLi2EEEENS8_IJLi4EEEENS8_IJLi3EEEEEEENS2_IJNS8_IJLi1ELi2EEEES10_SZ_NS8_IJLi5ELi6EEEENS8_IJLi7EEEEEEENS8_IJLi5ELi7ELi6EEEElEES17_NS2_IJNSI_INS2_IJSO_SQ_SQ_NSR_INS2_IJiNSL_IiLi256EEEEEELb0EEENSR_INS2_IJiNSL_IiLi128EEEEEELb0EEEEEENS2_IJSW_SX_SY_S10_SZ_EEENS2_IJS12_S10_SZ_S13_NS8_IJLi7ELi8EEEEEEENS8_IJLi5ELi6ELi7ELi8EEEElEES1J_EEES1J_NS_31BlockToCTileMap_M00_N0_M01AdaptILi256ELi128ENSI_INS2_IJSO_SQ_SQ_EEENS2_IJSW_SX_SY_EEENS2_IJS12_S10_SZ_EEENS8_IJLi3ELi4EEEElEEiEELb1EEEvPKT0_PKT1_T2_PT3_T4_T5_T6_T7_T8_T9_T10_T11_
                                        ; -- End function
	.set _ZN2ck35kernel_gemm_multiple_d_xdl_cshuffleINS_34GridwiseGemmMultipleD_xdl_cshuffleIDF16_DF16_DF16_ffNS_5TupleIJDF16_DF16_EEEDF16_NS_16tensor_operation12element_wise11PassThroughES6_NS5_14AddAddFastGeluELi1ELi256ELi256ELi128ELi32ELi8ELi8ELi16ELi16ELi8ELi2ENS_8SequenceIJLi4ELi64ELi1EEEENS8_IJLi1ELi0ELi2EEEESA_Li2ELi8ELi8ELb0ELi1ES9_SA_SA_Li2ELi8ELi8ELb0ELi1ELi1ELi1ENS8_IJLi1ELi32ELi1ELi8EEEELi4ELNS_13LoopSchedulerE0ELNS_15PipelineVersionE0EDF16_Lb0EEEDF16_DF16_NS2_IJPKDF16_SG_EEEDF16_S6_S6_S7_NS_16TensorDescriptorINS2_IJNS_5EmbedINS2_IJiiEEENS2_IJiNS_17integral_constantIiLi1EEEEEELb0EEENS_11PassThroughIiEESQ_NS_7UnMergeINS2_IJiNSL_IiLi8EEEEEELb0EEESQ_EEENS2_IJNS8_IJLi0EEEENS8_IJLi1EEEENS8_IJLi2EEEENS8_IJLi4EEEENS8_IJLi3EEEEEEENS2_IJNS8_IJLi1ELi2EEEES10_SZ_NS8_IJLi5ELi6EEEENS8_IJLi7EEEEEEENS8_IJLi5ELi7ELi6EEEElEES17_NS2_IJNSI_INS2_IJSO_SQ_SQ_NSR_INS2_IJiNSL_IiLi256EEEEEELb0EEENSR_INS2_IJiNSL_IiLi128EEEEEELb0EEEEEENS2_IJSW_SX_SY_S10_SZ_EEENS2_IJS12_S10_SZ_S13_NS8_IJLi7ELi8EEEEEEENS8_IJLi5ELi6ELi7ELi8EEEElEES1J_EEES1J_NS_31BlockToCTileMap_M00_N0_M01AdaptILi256ELi128ENSI_INS2_IJSO_SQ_SQ_EEENS2_IJSW_SX_SY_EEENS2_IJS12_S10_SZ_EEENS8_IJLi3ELi4EEEElEEiEELb1EEEvPKT0_PKT1_T2_PT3_T4_T5_T6_T7_T8_T9_T10_T11_.num_vgpr, 0
	.set _ZN2ck35kernel_gemm_multiple_d_xdl_cshuffleINS_34GridwiseGemmMultipleD_xdl_cshuffleIDF16_DF16_DF16_ffNS_5TupleIJDF16_DF16_EEEDF16_NS_16tensor_operation12element_wise11PassThroughES6_NS5_14AddAddFastGeluELi1ELi256ELi256ELi128ELi32ELi8ELi8ELi16ELi16ELi8ELi2ENS_8SequenceIJLi4ELi64ELi1EEEENS8_IJLi1ELi0ELi2EEEESA_Li2ELi8ELi8ELb0ELi1ES9_SA_SA_Li2ELi8ELi8ELb0ELi1ELi1ELi1ENS8_IJLi1ELi32ELi1ELi8EEEELi4ELNS_13LoopSchedulerE0ELNS_15PipelineVersionE0EDF16_Lb0EEEDF16_DF16_NS2_IJPKDF16_SG_EEEDF16_S6_S6_S7_NS_16TensorDescriptorINS2_IJNS_5EmbedINS2_IJiiEEENS2_IJiNS_17integral_constantIiLi1EEEEEELb0EEENS_11PassThroughIiEESQ_NS_7UnMergeINS2_IJiNSL_IiLi8EEEEEELb0EEESQ_EEENS2_IJNS8_IJLi0EEEENS8_IJLi1EEEENS8_IJLi2EEEENS8_IJLi4EEEENS8_IJLi3EEEEEEENS2_IJNS8_IJLi1ELi2EEEES10_SZ_NS8_IJLi5ELi6EEEENS8_IJLi7EEEEEEENS8_IJLi5ELi7ELi6EEEElEES17_NS2_IJNSI_INS2_IJSO_SQ_SQ_NSR_INS2_IJiNSL_IiLi256EEEEEELb0EEENSR_INS2_IJiNSL_IiLi128EEEEEELb0EEEEEENS2_IJSW_SX_SY_S10_SZ_EEENS2_IJS12_S10_SZ_S13_NS8_IJLi7ELi8EEEEEEENS8_IJLi5ELi6ELi7ELi8EEEElEES1J_EEES1J_NS_31BlockToCTileMap_M00_N0_M01AdaptILi256ELi128ENSI_INS2_IJSO_SQ_SQ_EEENS2_IJSW_SX_SY_EEENS2_IJS12_S10_SZ_EEENS8_IJLi3ELi4EEEElEEiEELb1EEEvPKT0_PKT1_T2_PT3_T4_T5_T6_T7_T8_T9_T10_T11_.num_agpr, 0
	.set _ZN2ck35kernel_gemm_multiple_d_xdl_cshuffleINS_34GridwiseGemmMultipleD_xdl_cshuffleIDF16_DF16_DF16_ffNS_5TupleIJDF16_DF16_EEEDF16_NS_16tensor_operation12element_wise11PassThroughES6_NS5_14AddAddFastGeluELi1ELi256ELi256ELi128ELi32ELi8ELi8ELi16ELi16ELi8ELi2ENS_8SequenceIJLi4ELi64ELi1EEEENS8_IJLi1ELi0ELi2EEEESA_Li2ELi8ELi8ELb0ELi1ES9_SA_SA_Li2ELi8ELi8ELb0ELi1ELi1ELi1ENS8_IJLi1ELi32ELi1ELi8EEEELi4ELNS_13LoopSchedulerE0ELNS_15PipelineVersionE0EDF16_Lb0EEEDF16_DF16_NS2_IJPKDF16_SG_EEEDF16_S6_S6_S7_NS_16TensorDescriptorINS2_IJNS_5EmbedINS2_IJiiEEENS2_IJiNS_17integral_constantIiLi1EEEEEELb0EEENS_11PassThroughIiEESQ_NS_7UnMergeINS2_IJiNSL_IiLi8EEEEEELb0EEESQ_EEENS2_IJNS8_IJLi0EEEENS8_IJLi1EEEENS8_IJLi2EEEENS8_IJLi4EEEENS8_IJLi3EEEEEEENS2_IJNS8_IJLi1ELi2EEEES10_SZ_NS8_IJLi5ELi6EEEENS8_IJLi7EEEEEEENS8_IJLi5ELi7ELi6EEEElEES17_NS2_IJNSI_INS2_IJSO_SQ_SQ_NSR_INS2_IJiNSL_IiLi256EEEEEELb0EEENSR_INS2_IJiNSL_IiLi128EEEEEELb0EEEEEENS2_IJSW_SX_SY_S10_SZ_EEENS2_IJS12_S10_SZ_S13_NS8_IJLi7ELi8EEEEEEENS8_IJLi5ELi6ELi7ELi8EEEElEES1J_EEES1J_NS_31BlockToCTileMap_M00_N0_M01AdaptILi256ELi128ENSI_INS2_IJSO_SQ_SQ_EEENS2_IJSW_SX_SY_EEENS2_IJS12_S10_SZ_EEENS8_IJLi3ELi4EEEElEEiEELb1EEEvPKT0_PKT1_T2_PT3_T4_T5_T6_T7_T8_T9_T10_T11_.numbered_sgpr, 0
	.set _ZN2ck35kernel_gemm_multiple_d_xdl_cshuffleINS_34GridwiseGemmMultipleD_xdl_cshuffleIDF16_DF16_DF16_ffNS_5TupleIJDF16_DF16_EEEDF16_NS_16tensor_operation12element_wise11PassThroughES6_NS5_14AddAddFastGeluELi1ELi256ELi256ELi128ELi32ELi8ELi8ELi16ELi16ELi8ELi2ENS_8SequenceIJLi4ELi64ELi1EEEENS8_IJLi1ELi0ELi2EEEESA_Li2ELi8ELi8ELb0ELi1ES9_SA_SA_Li2ELi8ELi8ELb0ELi1ELi1ELi1ENS8_IJLi1ELi32ELi1ELi8EEEELi4ELNS_13LoopSchedulerE0ELNS_15PipelineVersionE0EDF16_Lb0EEEDF16_DF16_NS2_IJPKDF16_SG_EEEDF16_S6_S6_S7_NS_16TensorDescriptorINS2_IJNS_5EmbedINS2_IJiiEEENS2_IJiNS_17integral_constantIiLi1EEEEEELb0EEENS_11PassThroughIiEESQ_NS_7UnMergeINS2_IJiNSL_IiLi8EEEEEELb0EEESQ_EEENS2_IJNS8_IJLi0EEEENS8_IJLi1EEEENS8_IJLi2EEEENS8_IJLi4EEEENS8_IJLi3EEEEEEENS2_IJNS8_IJLi1ELi2EEEES10_SZ_NS8_IJLi5ELi6EEEENS8_IJLi7EEEEEEENS8_IJLi5ELi7ELi6EEEElEES17_NS2_IJNSI_INS2_IJSO_SQ_SQ_NSR_INS2_IJiNSL_IiLi256EEEEEELb0EEENSR_INS2_IJiNSL_IiLi128EEEEEELb0EEEEEENS2_IJSW_SX_SY_S10_SZ_EEENS2_IJS12_S10_SZ_S13_NS8_IJLi7ELi8EEEEEEENS8_IJLi5ELi6ELi7ELi8EEEElEES1J_EEES1J_NS_31BlockToCTileMap_M00_N0_M01AdaptILi256ELi128ENSI_INS2_IJSO_SQ_SQ_EEENS2_IJSW_SX_SY_EEENS2_IJS12_S10_SZ_EEENS8_IJLi3ELi4EEEElEEiEELb1EEEvPKT0_PKT1_T2_PT3_T4_T5_T6_T7_T8_T9_T10_T11_.num_named_barrier, 0
	.set _ZN2ck35kernel_gemm_multiple_d_xdl_cshuffleINS_34GridwiseGemmMultipleD_xdl_cshuffleIDF16_DF16_DF16_ffNS_5TupleIJDF16_DF16_EEEDF16_NS_16tensor_operation12element_wise11PassThroughES6_NS5_14AddAddFastGeluELi1ELi256ELi256ELi128ELi32ELi8ELi8ELi16ELi16ELi8ELi2ENS_8SequenceIJLi4ELi64ELi1EEEENS8_IJLi1ELi0ELi2EEEESA_Li2ELi8ELi8ELb0ELi1ES9_SA_SA_Li2ELi8ELi8ELb0ELi1ELi1ELi1ENS8_IJLi1ELi32ELi1ELi8EEEELi4ELNS_13LoopSchedulerE0ELNS_15PipelineVersionE0EDF16_Lb0EEEDF16_DF16_NS2_IJPKDF16_SG_EEEDF16_S6_S6_S7_NS_16TensorDescriptorINS2_IJNS_5EmbedINS2_IJiiEEENS2_IJiNS_17integral_constantIiLi1EEEEEELb0EEENS_11PassThroughIiEESQ_NS_7UnMergeINS2_IJiNSL_IiLi8EEEEEELb0EEESQ_EEENS2_IJNS8_IJLi0EEEENS8_IJLi1EEEENS8_IJLi2EEEENS8_IJLi4EEEENS8_IJLi3EEEEEEENS2_IJNS8_IJLi1ELi2EEEES10_SZ_NS8_IJLi5ELi6EEEENS8_IJLi7EEEEEEENS8_IJLi5ELi7ELi6EEEElEES17_NS2_IJNSI_INS2_IJSO_SQ_SQ_NSR_INS2_IJiNSL_IiLi256EEEEEELb0EEENSR_INS2_IJiNSL_IiLi128EEEEEELb0EEEEEENS2_IJSW_SX_SY_S10_SZ_EEENS2_IJS12_S10_SZ_S13_NS8_IJLi7ELi8EEEEEEENS8_IJLi5ELi6ELi7ELi8EEEElEES1J_EEES1J_NS_31BlockToCTileMap_M00_N0_M01AdaptILi256ELi128ENSI_INS2_IJSO_SQ_SQ_EEENS2_IJSW_SX_SY_EEENS2_IJS12_S10_SZ_EEENS8_IJLi3ELi4EEEElEEiEELb1EEEvPKT0_PKT1_T2_PT3_T4_T5_T6_T7_T8_T9_T10_T11_.private_seg_size, 0
	.set _ZN2ck35kernel_gemm_multiple_d_xdl_cshuffleINS_34GridwiseGemmMultipleD_xdl_cshuffleIDF16_DF16_DF16_ffNS_5TupleIJDF16_DF16_EEEDF16_NS_16tensor_operation12element_wise11PassThroughES6_NS5_14AddAddFastGeluELi1ELi256ELi256ELi128ELi32ELi8ELi8ELi16ELi16ELi8ELi2ENS_8SequenceIJLi4ELi64ELi1EEEENS8_IJLi1ELi0ELi2EEEESA_Li2ELi8ELi8ELb0ELi1ES9_SA_SA_Li2ELi8ELi8ELb0ELi1ELi1ELi1ENS8_IJLi1ELi32ELi1ELi8EEEELi4ELNS_13LoopSchedulerE0ELNS_15PipelineVersionE0EDF16_Lb0EEEDF16_DF16_NS2_IJPKDF16_SG_EEEDF16_S6_S6_S7_NS_16TensorDescriptorINS2_IJNS_5EmbedINS2_IJiiEEENS2_IJiNS_17integral_constantIiLi1EEEEEELb0EEENS_11PassThroughIiEESQ_NS_7UnMergeINS2_IJiNSL_IiLi8EEEEEELb0EEESQ_EEENS2_IJNS8_IJLi0EEEENS8_IJLi1EEEENS8_IJLi2EEEENS8_IJLi4EEEENS8_IJLi3EEEEEEENS2_IJNS8_IJLi1ELi2EEEES10_SZ_NS8_IJLi5ELi6EEEENS8_IJLi7EEEEEEENS8_IJLi5ELi7ELi6EEEElEES17_NS2_IJNSI_INS2_IJSO_SQ_SQ_NSR_INS2_IJiNSL_IiLi256EEEEEELb0EEENSR_INS2_IJiNSL_IiLi128EEEEEELb0EEEEEENS2_IJSW_SX_SY_S10_SZ_EEENS2_IJS12_S10_SZ_S13_NS8_IJLi7ELi8EEEEEEENS8_IJLi5ELi6ELi7ELi8EEEElEES1J_EEES1J_NS_31BlockToCTileMap_M00_N0_M01AdaptILi256ELi128ENSI_INS2_IJSO_SQ_SQ_EEENS2_IJSW_SX_SY_EEENS2_IJS12_S10_SZ_EEENS8_IJLi3ELi4EEEElEEiEELb1EEEvPKT0_PKT1_T2_PT3_T4_T5_T6_T7_T8_T9_T10_T11_.uses_vcc, 0
	.set _ZN2ck35kernel_gemm_multiple_d_xdl_cshuffleINS_34GridwiseGemmMultipleD_xdl_cshuffleIDF16_DF16_DF16_ffNS_5TupleIJDF16_DF16_EEEDF16_NS_16tensor_operation12element_wise11PassThroughES6_NS5_14AddAddFastGeluELi1ELi256ELi256ELi128ELi32ELi8ELi8ELi16ELi16ELi8ELi2ENS_8SequenceIJLi4ELi64ELi1EEEENS8_IJLi1ELi0ELi2EEEESA_Li2ELi8ELi8ELb0ELi1ES9_SA_SA_Li2ELi8ELi8ELb0ELi1ELi1ELi1ENS8_IJLi1ELi32ELi1ELi8EEEELi4ELNS_13LoopSchedulerE0ELNS_15PipelineVersionE0EDF16_Lb0EEEDF16_DF16_NS2_IJPKDF16_SG_EEEDF16_S6_S6_S7_NS_16TensorDescriptorINS2_IJNS_5EmbedINS2_IJiiEEENS2_IJiNS_17integral_constantIiLi1EEEEEELb0EEENS_11PassThroughIiEESQ_NS_7UnMergeINS2_IJiNSL_IiLi8EEEEEELb0EEESQ_EEENS2_IJNS8_IJLi0EEEENS8_IJLi1EEEENS8_IJLi2EEEENS8_IJLi4EEEENS8_IJLi3EEEEEEENS2_IJNS8_IJLi1ELi2EEEES10_SZ_NS8_IJLi5ELi6EEEENS8_IJLi7EEEEEEENS8_IJLi5ELi7ELi6EEEElEES17_NS2_IJNSI_INS2_IJSO_SQ_SQ_NSR_INS2_IJiNSL_IiLi256EEEEEELb0EEENSR_INS2_IJiNSL_IiLi128EEEEEELb0EEEEEENS2_IJSW_SX_SY_S10_SZ_EEENS2_IJS12_S10_SZ_S13_NS8_IJLi7ELi8EEEEEEENS8_IJLi5ELi6ELi7ELi8EEEElEES1J_EEES1J_NS_31BlockToCTileMap_M00_N0_M01AdaptILi256ELi128ENSI_INS2_IJSO_SQ_SQ_EEENS2_IJSW_SX_SY_EEENS2_IJS12_S10_SZ_EEENS8_IJLi3ELi4EEEElEEiEELb1EEEvPKT0_PKT1_T2_PT3_T4_T5_T6_T7_T8_T9_T10_T11_.uses_flat_scratch, 0
	.set _ZN2ck35kernel_gemm_multiple_d_xdl_cshuffleINS_34GridwiseGemmMultipleD_xdl_cshuffleIDF16_DF16_DF16_ffNS_5TupleIJDF16_DF16_EEEDF16_NS_16tensor_operation12element_wise11PassThroughES6_NS5_14AddAddFastGeluELi1ELi256ELi256ELi128ELi32ELi8ELi8ELi16ELi16ELi8ELi2ENS_8SequenceIJLi4ELi64ELi1EEEENS8_IJLi1ELi0ELi2EEEESA_Li2ELi8ELi8ELb0ELi1ES9_SA_SA_Li2ELi8ELi8ELb0ELi1ELi1ELi1ENS8_IJLi1ELi32ELi1ELi8EEEELi4ELNS_13LoopSchedulerE0ELNS_15PipelineVersionE0EDF16_Lb0EEEDF16_DF16_NS2_IJPKDF16_SG_EEEDF16_S6_S6_S7_NS_16TensorDescriptorINS2_IJNS_5EmbedINS2_IJiiEEENS2_IJiNS_17integral_constantIiLi1EEEEEELb0EEENS_11PassThroughIiEESQ_NS_7UnMergeINS2_IJiNSL_IiLi8EEEEEELb0EEESQ_EEENS2_IJNS8_IJLi0EEEENS8_IJLi1EEEENS8_IJLi2EEEENS8_IJLi4EEEENS8_IJLi3EEEEEEENS2_IJNS8_IJLi1ELi2EEEES10_SZ_NS8_IJLi5ELi6EEEENS8_IJLi7EEEEEEENS8_IJLi5ELi7ELi6EEEElEES17_NS2_IJNSI_INS2_IJSO_SQ_SQ_NSR_INS2_IJiNSL_IiLi256EEEEEELb0EEENSR_INS2_IJiNSL_IiLi128EEEEEELb0EEEEEENS2_IJSW_SX_SY_S10_SZ_EEENS2_IJS12_S10_SZ_S13_NS8_IJLi7ELi8EEEEEEENS8_IJLi5ELi6ELi7ELi8EEEElEES1J_EEES1J_NS_31BlockToCTileMap_M00_N0_M01AdaptILi256ELi128ENSI_INS2_IJSO_SQ_SQ_EEENS2_IJSW_SX_SY_EEENS2_IJS12_S10_SZ_EEENS8_IJLi3ELi4EEEElEEiEELb1EEEvPKT0_PKT1_T2_PT3_T4_T5_T6_T7_T8_T9_T10_T11_.has_dyn_sized_stack, 0
	.set _ZN2ck35kernel_gemm_multiple_d_xdl_cshuffleINS_34GridwiseGemmMultipleD_xdl_cshuffleIDF16_DF16_DF16_ffNS_5TupleIJDF16_DF16_EEEDF16_NS_16tensor_operation12element_wise11PassThroughES6_NS5_14AddAddFastGeluELi1ELi256ELi256ELi128ELi32ELi8ELi8ELi16ELi16ELi8ELi2ENS_8SequenceIJLi4ELi64ELi1EEEENS8_IJLi1ELi0ELi2EEEESA_Li2ELi8ELi8ELb0ELi1ES9_SA_SA_Li2ELi8ELi8ELb0ELi1ELi1ELi1ENS8_IJLi1ELi32ELi1ELi8EEEELi4ELNS_13LoopSchedulerE0ELNS_15PipelineVersionE0EDF16_Lb0EEEDF16_DF16_NS2_IJPKDF16_SG_EEEDF16_S6_S6_S7_NS_16TensorDescriptorINS2_IJNS_5EmbedINS2_IJiiEEENS2_IJiNS_17integral_constantIiLi1EEEEEELb0EEENS_11PassThroughIiEESQ_NS_7UnMergeINS2_IJiNSL_IiLi8EEEEEELb0EEESQ_EEENS2_IJNS8_IJLi0EEEENS8_IJLi1EEEENS8_IJLi2EEEENS8_IJLi4EEEENS8_IJLi3EEEEEEENS2_IJNS8_IJLi1ELi2EEEES10_SZ_NS8_IJLi5ELi6EEEENS8_IJLi7EEEEEEENS8_IJLi5ELi7ELi6EEEElEES17_NS2_IJNSI_INS2_IJSO_SQ_SQ_NSR_INS2_IJiNSL_IiLi256EEEEEELb0EEENSR_INS2_IJiNSL_IiLi128EEEEEELb0EEEEEENS2_IJSW_SX_SY_S10_SZ_EEENS2_IJS12_S10_SZ_S13_NS8_IJLi7ELi8EEEEEEENS8_IJLi5ELi6ELi7ELi8EEEElEES1J_EEES1J_NS_31BlockToCTileMap_M00_N0_M01AdaptILi256ELi128ENSI_INS2_IJSO_SQ_SQ_EEENS2_IJSW_SX_SY_EEENS2_IJS12_S10_SZ_EEENS8_IJLi3ELi4EEEElEEiEELb1EEEvPKT0_PKT1_T2_PT3_T4_T5_T6_T7_T8_T9_T10_T11_.has_recursion, 0
	.set _ZN2ck35kernel_gemm_multiple_d_xdl_cshuffleINS_34GridwiseGemmMultipleD_xdl_cshuffleIDF16_DF16_DF16_ffNS_5TupleIJDF16_DF16_EEEDF16_NS_16tensor_operation12element_wise11PassThroughES6_NS5_14AddAddFastGeluELi1ELi256ELi256ELi128ELi32ELi8ELi8ELi16ELi16ELi8ELi2ENS_8SequenceIJLi4ELi64ELi1EEEENS8_IJLi1ELi0ELi2EEEESA_Li2ELi8ELi8ELb0ELi1ES9_SA_SA_Li2ELi8ELi8ELb0ELi1ELi1ELi1ENS8_IJLi1ELi32ELi1ELi8EEEELi4ELNS_13LoopSchedulerE0ELNS_15PipelineVersionE0EDF16_Lb0EEEDF16_DF16_NS2_IJPKDF16_SG_EEEDF16_S6_S6_S7_NS_16TensorDescriptorINS2_IJNS_5EmbedINS2_IJiiEEENS2_IJiNS_17integral_constantIiLi1EEEEEELb0EEENS_11PassThroughIiEESQ_NS_7UnMergeINS2_IJiNSL_IiLi8EEEEEELb0EEESQ_EEENS2_IJNS8_IJLi0EEEENS8_IJLi1EEEENS8_IJLi2EEEENS8_IJLi4EEEENS8_IJLi3EEEEEEENS2_IJNS8_IJLi1ELi2EEEES10_SZ_NS8_IJLi5ELi6EEEENS8_IJLi7EEEEEEENS8_IJLi5ELi7ELi6EEEElEES17_NS2_IJNSI_INS2_IJSO_SQ_SQ_NSR_INS2_IJiNSL_IiLi256EEEEEELb0EEENSR_INS2_IJiNSL_IiLi128EEEEEELb0EEEEEENS2_IJSW_SX_SY_S10_SZ_EEENS2_IJS12_S10_SZ_S13_NS8_IJLi7ELi8EEEEEEENS8_IJLi5ELi6ELi7ELi8EEEElEES1J_EEES1J_NS_31BlockToCTileMap_M00_N0_M01AdaptILi256ELi128ENSI_INS2_IJSO_SQ_SQ_EEENS2_IJSW_SX_SY_EEENS2_IJS12_S10_SZ_EEENS8_IJLi3ELi4EEEElEEiEELb1EEEvPKT0_PKT1_T2_PT3_T4_T5_T6_T7_T8_T9_T10_T11_.has_indirect_call, 0
	.section	.AMDGPU.csdata,"",@progbits
; Kernel info:
; codeLenInByte = 4
; TotalNumSgprs: 6
; NumVgprs: 0
; NumAgprs: 0
; TotalNumVgprs: 0
; ScratchSize: 0
; MemoryBound: 0
; FloatMode: 240
; IeeeMode: 1
; LDSByteSize: 0 bytes/workgroup (compile time only)
; SGPRBlocks: 0
; VGPRBlocks: 0
; NumSGPRsForWavesPerEU: 6
; NumVGPRsForWavesPerEU: 1
; AccumOffset: 4
; Occupancy: 8
; WaveLimiterHint : 0
; COMPUTE_PGM_RSRC2:SCRATCH_EN: 0
; COMPUTE_PGM_RSRC2:USER_SGPR: 2
; COMPUTE_PGM_RSRC2:TRAP_HANDLER: 0
; COMPUTE_PGM_RSRC2:TGID_X_EN: 1
; COMPUTE_PGM_RSRC2:TGID_Y_EN: 0
; COMPUTE_PGM_RSRC2:TGID_Z_EN: 0
; COMPUTE_PGM_RSRC2:TIDIG_COMP_CNT: 0
; COMPUTE_PGM_RSRC3_GFX90A:ACCUM_OFFSET: 0
; COMPUTE_PGM_RSRC3_GFX90A:TG_SPLIT: 0
	.section	.text._ZN2ck35kernel_gemm_multiple_d_xdl_cshuffleINS_34GridwiseGemmMultipleD_xdl_cshuffleIDF16_DF16_DF16_ffNS_5TupleIJDF16_DF16_EEEDF16_NS_16tensor_operation12element_wise11PassThroughES6_NS5_14AddAddFastGeluELi1ELi256ELi256ELi128ELi32ELi8ELi8ELi16ELi16ELi8ELi2ENS_8SequenceIJLi4ELi64ELi1EEEENS8_IJLi1ELi0ELi2EEEESA_Li2ELi8ELi8ELb0ELi1ES9_SA_SA_Li2ELi8ELi8ELb0ELi1ELi1ELi1ENS8_IJLi1ELi32ELi1ELi8EEEELi4ELNS_13LoopSchedulerE0ELNS_15PipelineVersionE0EDF16_Lb0EEEDF16_DF16_NS2_IJPKDF16_SG_EEEDF16_S6_S6_S7_NS_16TensorDescriptorINS2_IJNS_5EmbedINS2_IJiiEEENS2_IJiNS_17integral_constantIiLi1EEEEEELb0EEENS_11PassThroughIiEESQ_NS_7UnMergeINS2_IJiNSL_IiLi8EEEEEELb0EEESQ_EEENS2_IJNS8_IJLi0EEEENS8_IJLi1EEEENS8_IJLi2EEEENS8_IJLi4EEEENS8_IJLi3EEEEEEENS2_IJNS8_IJLi1ELi2EEEES10_SZ_NS8_IJLi5ELi6EEEENS8_IJLi7EEEEEEENS8_IJLi5ELi7ELi6EEEElEES17_NS2_IJNSI_INS2_IJSO_SQ_SQ_NSR_INS2_IJiNSL_IiLi256EEEEEELb0EEENSR_INS2_IJiNSL_IiLi128EEEEEELb0EEEEEENS2_IJSW_SX_SY_S10_SZ_EEENS2_IJS12_S10_SZ_S13_NS8_IJLi7ELi8EEEEEEENS8_IJLi5ELi6ELi7ELi8EEEElEES1J_EEES1J_NS_31BlockToCTileMap_M00_N0_M01AdaptILi256ELi128ENSI_INS2_IJSO_SQ_SQ_EEENS2_IJSW_SX_SY_EEENS2_IJS12_S10_SZ_EEENS8_IJLi3ELi4EEEElEEiEELb0EEEvPKT0_PKT1_T2_PT3_T4_T5_T6_T7_T8_T9_T10_T11_,"axG",@progbits,_ZN2ck35kernel_gemm_multiple_d_xdl_cshuffleINS_34GridwiseGemmMultipleD_xdl_cshuffleIDF16_DF16_DF16_ffNS_5TupleIJDF16_DF16_EEEDF16_NS_16tensor_operation12element_wise11PassThroughES6_NS5_14AddAddFastGeluELi1ELi256ELi256ELi128ELi32ELi8ELi8ELi16ELi16ELi8ELi2ENS_8SequenceIJLi4ELi64ELi1EEEENS8_IJLi1ELi0ELi2EEEESA_Li2ELi8ELi8ELb0ELi1ES9_SA_SA_Li2ELi8ELi8ELb0ELi1ELi1ELi1ENS8_IJLi1ELi32ELi1ELi8EEEELi4ELNS_13LoopSchedulerE0ELNS_15PipelineVersionE0EDF16_Lb0EEEDF16_DF16_NS2_IJPKDF16_SG_EEEDF16_S6_S6_S7_NS_16TensorDescriptorINS2_IJNS_5EmbedINS2_IJiiEEENS2_IJiNS_17integral_constantIiLi1EEEEEELb0EEENS_11PassThroughIiEESQ_NS_7UnMergeINS2_IJiNSL_IiLi8EEEEEELb0EEESQ_EEENS2_IJNS8_IJLi0EEEENS8_IJLi1EEEENS8_IJLi2EEEENS8_IJLi4EEEENS8_IJLi3EEEEEEENS2_IJNS8_IJLi1ELi2EEEES10_SZ_NS8_IJLi5ELi6EEEENS8_IJLi7EEEEEEENS8_IJLi5ELi7ELi6EEEElEES17_NS2_IJNSI_INS2_IJSO_SQ_SQ_NSR_INS2_IJiNSL_IiLi256EEEEEELb0EEENSR_INS2_IJiNSL_IiLi128EEEEEELb0EEEEEENS2_IJSW_SX_SY_S10_SZ_EEENS2_IJS12_S10_SZ_S13_NS8_IJLi7ELi8EEEEEEENS8_IJLi5ELi6ELi7ELi8EEEElEES1J_EEES1J_NS_31BlockToCTileMap_M00_N0_M01AdaptILi256ELi128ENSI_INS2_IJSO_SQ_SQ_EEENS2_IJSW_SX_SY_EEENS2_IJS12_S10_SZ_EEENS8_IJLi3ELi4EEEElEEiEELb0EEEvPKT0_PKT1_T2_PT3_T4_T5_T6_T7_T8_T9_T10_T11_,comdat
	.protected	_ZN2ck35kernel_gemm_multiple_d_xdl_cshuffleINS_34GridwiseGemmMultipleD_xdl_cshuffleIDF16_DF16_DF16_ffNS_5TupleIJDF16_DF16_EEEDF16_NS_16tensor_operation12element_wise11PassThroughES6_NS5_14AddAddFastGeluELi1ELi256ELi256ELi128ELi32ELi8ELi8ELi16ELi16ELi8ELi2ENS_8SequenceIJLi4ELi64ELi1EEEENS8_IJLi1ELi0ELi2EEEESA_Li2ELi8ELi8ELb0ELi1ES9_SA_SA_Li2ELi8ELi8ELb0ELi1ELi1ELi1ENS8_IJLi1ELi32ELi1ELi8EEEELi4ELNS_13LoopSchedulerE0ELNS_15PipelineVersionE0EDF16_Lb0EEEDF16_DF16_NS2_IJPKDF16_SG_EEEDF16_S6_S6_S7_NS_16TensorDescriptorINS2_IJNS_5EmbedINS2_IJiiEEENS2_IJiNS_17integral_constantIiLi1EEEEEELb0EEENS_11PassThroughIiEESQ_NS_7UnMergeINS2_IJiNSL_IiLi8EEEEEELb0EEESQ_EEENS2_IJNS8_IJLi0EEEENS8_IJLi1EEEENS8_IJLi2EEEENS8_IJLi4EEEENS8_IJLi3EEEEEEENS2_IJNS8_IJLi1ELi2EEEES10_SZ_NS8_IJLi5ELi6EEEENS8_IJLi7EEEEEEENS8_IJLi5ELi7ELi6EEEElEES17_NS2_IJNSI_INS2_IJSO_SQ_SQ_NSR_INS2_IJiNSL_IiLi256EEEEEELb0EEENSR_INS2_IJiNSL_IiLi128EEEEEELb0EEEEEENS2_IJSW_SX_SY_S10_SZ_EEENS2_IJS12_S10_SZ_S13_NS8_IJLi7ELi8EEEEEEENS8_IJLi5ELi6ELi7ELi8EEEElEES1J_EEES1J_NS_31BlockToCTileMap_M00_N0_M01AdaptILi256ELi128ENSI_INS2_IJSO_SQ_SQ_EEENS2_IJSW_SX_SY_EEENS2_IJS12_S10_SZ_EEENS8_IJLi3ELi4EEEElEEiEELb0EEEvPKT0_PKT1_T2_PT3_T4_T5_T6_T7_T8_T9_T10_T11_ ; -- Begin function _ZN2ck35kernel_gemm_multiple_d_xdl_cshuffleINS_34GridwiseGemmMultipleD_xdl_cshuffleIDF16_DF16_DF16_ffNS_5TupleIJDF16_DF16_EEEDF16_NS_16tensor_operation12element_wise11PassThroughES6_NS5_14AddAddFastGeluELi1ELi256ELi256ELi128ELi32ELi8ELi8ELi16ELi16ELi8ELi2ENS_8SequenceIJLi4ELi64ELi1EEEENS8_IJLi1ELi0ELi2EEEESA_Li2ELi8ELi8ELb0ELi1ES9_SA_SA_Li2ELi8ELi8ELb0ELi1ELi1ELi1ENS8_IJLi1ELi32ELi1ELi8EEEELi4ELNS_13LoopSchedulerE0ELNS_15PipelineVersionE0EDF16_Lb0EEEDF16_DF16_NS2_IJPKDF16_SG_EEEDF16_S6_S6_S7_NS_16TensorDescriptorINS2_IJNS_5EmbedINS2_IJiiEEENS2_IJiNS_17integral_constantIiLi1EEEEEELb0EEENS_11PassThroughIiEESQ_NS_7UnMergeINS2_IJiNSL_IiLi8EEEEEELb0EEESQ_EEENS2_IJNS8_IJLi0EEEENS8_IJLi1EEEENS8_IJLi2EEEENS8_IJLi4EEEENS8_IJLi3EEEEEEENS2_IJNS8_IJLi1ELi2EEEES10_SZ_NS8_IJLi5ELi6EEEENS8_IJLi7EEEEEEENS8_IJLi5ELi7ELi6EEEElEES17_NS2_IJNSI_INS2_IJSO_SQ_SQ_NSR_INS2_IJiNSL_IiLi256EEEEEELb0EEENSR_INS2_IJiNSL_IiLi128EEEEEELb0EEEEEENS2_IJSW_SX_SY_S10_SZ_EEENS2_IJS12_S10_SZ_S13_NS8_IJLi7ELi8EEEEEEENS8_IJLi5ELi6ELi7ELi8EEEElEES1J_EEES1J_NS_31BlockToCTileMap_M00_N0_M01AdaptILi256ELi128ENSI_INS2_IJSO_SQ_SQ_EEENS2_IJSW_SX_SY_EEENS2_IJS12_S10_SZ_EEENS8_IJLi3ELi4EEEElEEiEELb0EEEvPKT0_PKT1_T2_PT3_T4_T5_T6_T7_T8_T9_T10_T11_
	.globl	_ZN2ck35kernel_gemm_multiple_d_xdl_cshuffleINS_34GridwiseGemmMultipleD_xdl_cshuffleIDF16_DF16_DF16_ffNS_5TupleIJDF16_DF16_EEEDF16_NS_16tensor_operation12element_wise11PassThroughES6_NS5_14AddAddFastGeluELi1ELi256ELi256ELi128ELi32ELi8ELi8ELi16ELi16ELi8ELi2ENS_8SequenceIJLi4ELi64ELi1EEEENS8_IJLi1ELi0ELi2EEEESA_Li2ELi8ELi8ELb0ELi1ES9_SA_SA_Li2ELi8ELi8ELb0ELi1ELi1ELi1ENS8_IJLi1ELi32ELi1ELi8EEEELi4ELNS_13LoopSchedulerE0ELNS_15PipelineVersionE0EDF16_Lb0EEEDF16_DF16_NS2_IJPKDF16_SG_EEEDF16_S6_S6_S7_NS_16TensorDescriptorINS2_IJNS_5EmbedINS2_IJiiEEENS2_IJiNS_17integral_constantIiLi1EEEEEELb0EEENS_11PassThroughIiEESQ_NS_7UnMergeINS2_IJiNSL_IiLi8EEEEEELb0EEESQ_EEENS2_IJNS8_IJLi0EEEENS8_IJLi1EEEENS8_IJLi2EEEENS8_IJLi4EEEENS8_IJLi3EEEEEEENS2_IJNS8_IJLi1ELi2EEEES10_SZ_NS8_IJLi5ELi6EEEENS8_IJLi7EEEEEEENS8_IJLi5ELi7ELi6EEEElEES17_NS2_IJNSI_INS2_IJSO_SQ_SQ_NSR_INS2_IJiNSL_IiLi256EEEEEELb0EEENSR_INS2_IJiNSL_IiLi128EEEEEELb0EEEEEENS2_IJSW_SX_SY_S10_SZ_EEENS2_IJS12_S10_SZ_S13_NS8_IJLi7ELi8EEEEEEENS8_IJLi5ELi6ELi7ELi8EEEElEES1J_EEES1J_NS_31BlockToCTileMap_M00_N0_M01AdaptILi256ELi128ENSI_INS2_IJSO_SQ_SQ_EEENS2_IJSW_SX_SY_EEENS2_IJS12_S10_SZ_EEENS8_IJLi3ELi4EEEElEEiEELb0EEEvPKT0_PKT1_T2_PT3_T4_T5_T6_T7_T8_T9_T10_T11_
	.p2align	8
	.type	_ZN2ck35kernel_gemm_multiple_d_xdl_cshuffleINS_34GridwiseGemmMultipleD_xdl_cshuffleIDF16_DF16_DF16_ffNS_5TupleIJDF16_DF16_EEEDF16_NS_16tensor_operation12element_wise11PassThroughES6_NS5_14AddAddFastGeluELi1ELi256ELi256ELi128ELi32ELi8ELi8ELi16ELi16ELi8ELi2ENS_8SequenceIJLi4ELi64ELi1EEEENS8_IJLi1ELi0ELi2EEEESA_Li2ELi8ELi8ELb0ELi1ES9_SA_SA_Li2ELi8ELi8ELb0ELi1ELi1ELi1ENS8_IJLi1ELi32ELi1ELi8EEEELi4ELNS_13LoopSchedulerE0ELNS_15PipelineVersionE0EDF16_Lb0EEEDF16_DF16_NS2_IJPKDF16_SG_EEEDF16_S6_S6_S7_NS_16TensorDescriptorINS2_IJNS_5EmbedINS2_IJiiEEENS2_IJiNS_17integral_constantIiLi1EEEEEELb0EEENS_11PassThroughIiEESQ_NS_7UnMergeINS2_IJiNSL_IiLi8EEEEEELb0EEESQ_EEENS2_IJNS8_IJLi0EEEENS8_IJLi1EEEENS8_IJLi2EEEENS8_IJLi4EEEENS8_IJLi3EEEEEEENS2_IJNS8_IJLi1ELi2EEEES10_SZ_NS8_IJLi5ELi6EEEENS8_IJLi7EEEEEEENS8_IJLi5ELi7ELi6EEEElEES17_NS2_IJNSI_INS2_IJSO_SQ_SQ_NSR_INS2_IJiNSL_IiLi256EEEEEELb0EEENSR_INS2_IJiNSL_IiLi128EEEEEELb0EEEEEENS2_IJSW_SX_SY_S10_SZ_EEENS2_IJS12_S10_SZ_S13_NS8_IJLi7ELi8EEEEEEENS8_IJLi5ELi6ELi7ELi8EEEElEES1J_EEES1J_NS_31BlockToCTileMap_M00_N0_M01AdaptILi256ELi128ENSI_INS2_IJSO_SQ_SQ_EEENS2_IJSW_SX_SY_EEENS2_IJS12_S10_SZ_EEENS8_IJLi3ELi4EEEElEEiEELb0EEEvPKT0_PKT1_T2_PT3_T4_T5_T6_T7_T8_T9_T10_T11_,@function
_ZN2ck35kernel_gemm_multiple_d_xdl_cshuffleINS_34GridwiseGemmMultipleD_xdl_cshuffleIDF16_DF16_DF16_ffNS_5TupleIJDF16_DF16_EEEDF16_NS_16tensor_operation12element_wise11PassThroughES6_NS5_14AddAddFastGeluELi1ELi256ELi256ELi128ELi32ELi8ELi8ELi16ELi16ELi8ELi2ENS_8SequenceIJLi4ELi64ELi1EEEENS8_IJLi1ELi0ELi2EEEESA_Li2ELi8ELi8ELb0ELi1ES9_SA_SA_Li2ELi8ELi8ELb0ELi1ELi1ELi1ENS8_IJLi1ELi32ELi1ELi8EEEELi4ELNS_13LoopSchedulerE0ELNS_15PipelineVersionE0EDF16_Lb0EEEDF16_DF16_NS2_IJPKDF16_SG_EEEDF16_S6_S6_S7_NS_16TensorDescriptorINS2_IJNS_5EmbedINS2_IJiiEEENS2_IJiNS_17integral_constantIiLi1EEEEEELb0EEENS_11PassThroughIiEESQ_NS_7UnMergeINS2_IJiNSL_IiLi8EEEEEELb0EEESQ_EEENS2_IJNS8_IJLi0EEEENS8_IJLi1EEEENS8_IJLi2EEEENS8_IJLi4EEEENS8_IJLi3EEEEEEENS2_IJNS8_IJLi1ELi2EEEES10_SZ_NS8_IJLi5ELi6EEEENS8_IJLi7EEEEEEENS8_IJLi5ELi7ELi6EEEElEES17_NS2_IJNSI_INS2_IJSO_SQ_SQ_NSR_INS2_IJiNSL_IiLi256EEEEEELb0EEENSR_INS2_IJiNSL_IiLi128EEEEEELb0EEEEEENS2_IJSW_SX_SY_S10_SZ_EEENS2_IJS12_S10_SZ_S13_NS8_IJLi7ELi8EEEEEEENS8_IJLi5ELi6ELi7ELi8EEEElEES1J_EEES1J_NS_31BlockToCTileMap_M00_N0_M01AdaptILi256ELi128ENSI_INS2_IJSO_SQ_SQ_EEENS2_IJSW_SX_SY_EEENS2_IJS12_S10_SZ_EEENS8_IJLi3ELi4EEEElEEiEELb0EEEvPKT0_PKT1_T2_PT3_T4_T5_T6_T7_T8_T9_T10_T11_: ; @_ZN2ck35kernel_gemm_multiple_d_xdl_cshuffleINS_34GridwiseGemmMultipleD_xdl_cshuffleIDF16_DF16_DF16_ffNS_5TupleIJDF16_DF16_EEEDF16_NS_16tensor_operation12element_wise11PassThroughES6_NS5_14AddAddFastGeluELi1ELi256ELi256ELi128ELi32ELi8ELi8ELi16ELi16ELi8ELi2ENS_8SequenceIJLi4ELi64ELi1EEEENS8_IJLi1ELi0ELi2EEEESA_Li2ELi8ELi8ELb0ELi1ES9_SA_SA_Li2ELi8ELi8ELb0ELi1ELi1ELi1ENS8_IJLi1ELi32ELi1ELi8EEEELi4ELNS_13LoopSchedulerE0ELNS_15PipelineVersionE0EDF16_Lb0EEEDF16_DF16_NS2_IJPKDF16_SG_EEEDF16_S6_S6_S7_NS_16TensorDescriptorINS2_IJNS_5EmbedINS2_IJiiEEENS2_IJiNS_17integral_constantIiLi1EEEEEELb0EEENS_11PassThroughIiEESQ_NS_7UnMergeINS2_IJiNSL_IiLi8EEEEEELb0EEESQ_EEENS2_IJNS8_IJLi0EEEENS8_IJLi1EEEENS8_IJLi2EEEENS8_IJLi4EEEENS8_IJLi3EEEEEEENS2_IJNS8_IJLi1ELi2EEEES10_SZ_NS8_IJLi5ELi6EEEENS8_IJLi7EEEEEEENS8_IJLi5ELi7ELi6EEEElEES17_NS2_IJNSI_INS2_IJSO_SQ_SQ_NSR_INS2_IJiNSL_IiLi256EEEEEELb0EEENSR_INS2_IJiNSL_IiLi128EEEEEELb0EEEEEENS2_IJSW_SX_SY_S10_SZ_EEENS2_IJS12_S10_SZ_S13_NS8_IJLi7ELi8EEEEEEENS8_IJLi5ELi6ELi7ELi8EEEElEES1J_EEES1J_NS_31BlockToCTileMap_M00_N0_M01AdaptILi256ELi128ENSI_INS2_IJSO_SQ_SQ_EEENS2_IJSW_SX_SY_EEENS2_IJS12_S10_SZ_EEENS8_IJLi3ELi4EEEElEEiEELb0EEEvPKT0_PKT1_T2_PT3_T4_T5_T6_T7_T8_T9_T10_T11_
; %bb.0:
	s_endpgm
	.section	.rodata,"a",@progbits
	.p2align	6, 0x0
	.amdhsa_kernel _ZN2ck35kernel_gemm_multiple_d_xdl_cshuffleINS_34GridwiseGemmMultipleD_xdl_cshuffleIDF16_DF16_DF16_ffNS_5TupleIJDF16_DF16_EEEDF16_NS_16tensor_operation12element_wise11PassThroughES6_NS5_14AddAddFastGeluELi1ELi256ELi256ELi128ELi32ELi8ELi8ELi16ELi16ELi8ELi2ENS_8SequenceIJLi4ELi64ELi1EEEENS8_IJLi1ELi0ELi2EEEESA_Li2ELi8ELi8ELb0ELi1ES9_SA_SA_Li2ELi8ELi8ELb0ELi1ELi1ELi1ENS8_IJLi1ELi32ELi1ELi8EEEELi4ELNS_13LoopSchedulerE0ELNS_15PipelineVersionE0EDF16_Lb0EEEDF16_DF16_NS2_IJPKDF16_SG_EEEDF16_S6_S6_S7_NS_16TensorDescriptorINS2_IJNS_5EmbedINS2_IJiiEEENS2_IJiNS_17integral_constantIiLi1EEEEEELb0EEENS_11PassThroughIiEESQ_NS_7UnMergeINS2_IJiNSL_IiLi8EEEEEELb0EEESQ_EEENS2_IJNS8_IJLi0EEEENS8_IJLi1EEEENS8_IJLi2EEEENS8_IJLi4EEEENS8_IJLi3EEEEEEENS2_IJNS8_IJLi1ELi2EEEES10_SZ_NS8_IJLi5ELi6EEEENS8_IJLi7EEEEEEENS8_IJLi5ELi7ELi6EEEElEES17_NS2_IJNSI_INS2_IJSO_SQ_SQ_NSR_INS2_IJiNSL_IiLi256EEEEEELb0EEENSR_INS2_IJiNSL_IiLi128EEEEEELb0EEEEEENS2_IJSW_SX_SY_S10_SZ_EEENS2_IJS12_S10_SZ_S13_NS8_IJLi7ELi8EEEEEEENS8_IJLi5ELi6ELi7ELi8EEEElEES1J_EEES1J_NS_31BlockToCTileMap_M00_N0_M01AdaptILi256ELi128ENSI_INS2_IJSO_SQ_SQ_EEENS2_IJSW_SX_SY_EEENS2_IJS12_S10_SZ_EEENS8_IJLi3ELi4EEEElEEiEELb0EEEvPKT0_PKT1_T2_PT3_T4_T5_T6_T7_T8_T9_T10_T11_
		.amdhsa_group_segment_fixed_size 0
		.amdhsa_private_segment_fixed_size 0
		.amdhsa_kernarg_size 364
		.amdhsa_user_sgpr_count 2
		.amdhsa_user_sgpr_dispatch_ptr 0
		.amdhsa_user_sgpr_queue_ptr 0
		.amdhsa_user_sgpr_kernarg_segment_ptr 1
		.amdhsa_user_sgpr_dispatch_id 0
		.amdhsa_user_sgpr_kernarg_preload_length 0
		.amdhsa_user_sgpr_kernarg_preload_offset 0
		.amdhsa_user_sgpr_private_segment_size 0
		.amdhsa_uses_dynamic_stack 0
		.amdhsa_enable_private_segment 0
		.amdhsa_system_sgpr_workgroup_id_x 1
		.amdhsa_system_sgpr_workgroup_id_y 0
		.amdhsa_system_sgpr_workgroup_id_z 0
		.amdhsa_system_sgpr_workgroup_info 0
		.amdhsa_system_vgpr_workitem_id 0
		.amdhsa_next_free_vgpr 1
		.amdhsa_next_free_sgpr 0
		.amdhsa_accum_offset 4
		.amdhsa_reserve_vcc 0
		.amdhsa_float_round_mode_32 0
		.amdhsa_float_round_mode_16_64 0
		.amdhsa_float_denorm_mode_32 3
		.amdhsa_float_denorm_mode_16_64 3
		.amdhsa_dx10_clamp 1
		.amdhsa_ieee_mode 1
		.amdhsa_fp16_overflow 0
		.amdhsa_tg_split 0
		.amdhsa_exception_fp_ieee_invalid_op 0
		.amdhsa_exception_fp_denorm_src 0
		.amdhsa_exception_fp_ieee_div_zero 0
		.amdhsa_exception_fp_ieee_overflow 0
		.amdhsa_exception_fp_ieee_underflow 0
		.amdhsa_exception_fp_ieee_inexact 0
		.amdhsa_exception_int_div_zero 0
	.end_amdhsa_kernel
	.section	.text._ZN2ck35kernel_gemm_multiple_d_xdl_cshuffleINS_34GridwiseGemmMultipleD_xdl_cshuffleIDF16_DF16_DF16_ffNS_5TupleIJDF16_DF16_EEEDF16_NS_16tensor_operation12element_wise11PassThroughES6_NS5_14AddAddFastGeluELi1ELi256ELi256ELi128ELi32ELi8ELi8ELi16ELi16ELi8ELi2ENS_8SequenceIJLi4ELi64ELi1EEEENS8_IJLi1ELi0ELi2EEEESA_Li2ELi8ELi8ELb0ELi1ES9_SA_SA_Li2ELi8ELi8ELb0ELi1ELi1ELi1ENS8_IJLi1ELi32ELi1ELi8EEEELi4ELNS_13LoopSchedulerE0ELNS_15PipelineVersionE0EDF16_Lb0EEEDF16_DF16_NS2_IJPKDF16_SG_EEEDF16_S6_S6_S7_NS_16TensorDescriptorINS2_IJNS_5EmbedINS2_IJiiEEENS2_IJiNS_17integral_constantIiLi1EEEEEELb0EEENS_11PassThroughIiEESQ_NS_7UnMergeINS2_IJiNSL_IiLi8EEEEEELb0EEESQ_EEENS2_IJNS8_IJLi0EEEENS8_IJLi1EEEENS8_IJLi2EEEENS8_IJLi4EEEENS8_IJLi3EEEEEEENS2_IJNS8_IJLi1ELi2EEEES10_SZ_NS8_IJLi5ELi6EEEENS8_IJLi7EEEEEEENS8_IJLi5ELi7ELi6EEEElEES17_NS2_IJNSI_INS2_IJSO_SQ_SQ_NSR_INS2_IJiNSL_IiLi256EEEEEELb0EEENSR_INS2_IJiNSL_IiLi128EEEEEELb0EEEEEENS2_IJSW_SX_SY_S10_SZ_EEENS2_IJS12_S10_SZ_S13_NS8_IJLi7ELi8EEEEEEENS8_IJLi5ELi6ELi7ELi8EEEElEES1J_EEES1J_NS_31BlockToCTileMap_M00_N0_M01AdaptILi256ELi128ENSI_INS2_IJSO_SQ_SQ_EEENS2_IJSW_SX_SY_EEENS2_IJS12_S10_SZ_EEENS8_IJLi3ELi4EEEElEEiEELb0EEEvPKT0_PKT1_T2_PT3_T4_T5_T6_T7_T8_T9_T10_T11_,"axG",@progbits,_ZN2ck35kernel_gemm_multiple_d_xdl_cshuffleINS_34GridwiseGemmMultipleD_xdl_cshuffleIDF16_DF16_DF16_ffNS_5TupleIJDF16_DF16_EEEDF16_NS_16tensor_operation12element_wise11PassThroughES6_NS5_14AddAddFastGeluELi1ELi256ELi256ELi128ELi32ELi8ELi8ELi16ELi16ELi8ELi2ENS_8SequenceIJLi4ELi64ELi1EEEENS8_IJLi1ELi0ELi2EEEESA_Li2ELi8ELi8ELb0ELi1ES9_SA_SA_Li2ELi8ELi8ELb0ELi1ELi1ELi1ENS8_IJLi1ELi32ELi1ELi8EEEELi4ELNS_13LoopSchedulerE0ELNS_15PipelineVersionE0EDF16_Lb0EEEDF16_DF16_NS2_IJPKDF16_SG_EEEDF16_S6_S6_S7_NS_16TensorDescriptorINS2_IJNS_5EmbedINS2_IJiiEEENS2_IJiNS_17integral_constantIiLi1EEEEEELb0EEENS_11PassThroughIiEESQ_NS_7UnMergeINS2_IJiNSL_IiLi8EEEEEELb0EEESQ_EEENS2_IJNS8_IJLi0EEEENS8_IJLi1EEEENS8_IJLi2EEEENS8_IJLi4EEEENS8_IJLi3EEEEEEENS2_IJNS8_IJLi1ELi2EEEES10_SZ_NS8_IJLi5ELi6EEEENS8_IJLi7EEEEEEENS8_IJLi5ELi7ELi6EEEElEES17_NS2_IJNSI_INS2_IJSO_SQ_SQ_NSR_INS2_IJiNSL_IiLi256EEEEEELb0EEENSR_INS2_IJiNSL_IiLi128EEEEEELb0EEEEEENS2_IJSW_SX_SY_S10_SZ_EEENS2_IJS12_S10_SZ_S13_NS8_IJLi7ELi8EEEEEEENS8_IJLi5ELi6ELi7ELi8EEEElEES1J_EEES1J_NS_31BlockToCTileMap_M00_N0_M01AdaptILi256ELi128ENSI_INS2_IJSO_SQ_SQ_EEENS2_IJSW_SX_SY_EEENS2_IJS12_S10_SZ_EEENS8_IJLi3ELi4EEEElEEiEELb0EEEvPKT0_PKT1_T2_PT3_T4_T5_T6_T7_T8_T9_T10_T11_,comdat
.Lfunc_end4:
	.size	_ZN2ck35kernel_gemm_multiple_d_xdl_cshuffleINS_34GridwiseGemmMultipleD_xdl_cshuffleIDF16_DF16_DF16_ffNS_5TupleIJDF16_DF16_EEEDF16_NS_16tensor_operation12element_wise11PassThroughES6_NS5_14AddAddFastGeluELi1ELi256ELi256ELi128ELi32ELi8ELi8ELi16ELi16ELi8ELi2ENS_8SequenceIJLi4ELi64ELi1EEEENS8_IJLi1ELi0ELi2EEEESA_Li2ELi8ELi8ELb0ELi1ES9_SA_SA_Li2ELi8ELi8ELb0ELi1ELi1ELi1ENS8_IJLi1ELi32ELi1ELi8EEEELi4ELNS_13LoopSchedulerE0ELNS_15PipelineVersionE0EDF16_Lb0EEEDF16_DF16_NS2_IJPKDF16_SG_EEEDF16_S6_S6_S7_NS_16TensorDescriptorINS2_IJNS_5EmbedINS2_IJiiEEENS2_IJiNS_17integral_constantIiLi1EEEEEELb0EEENS_11PassThroughIiEESQ_NS_7UnMergeINS2_IJiNSL_IiLi8EEEEEELb0EEESQ_EEENS2_IJNS8_IJLi0EEEENS8_IJLi1EEEENS8_IJLi2EEEENS8_IJLi4EEEENS8_IJLi3EEEEEEENS2_IJNS8_IJLi1ELi2EEEES10_SZ_NS8_IJLi5ELi6EEEENS8_IJLi7EEEEEEENS8_IJLi5ELi7ELi6EEEElEES17_NS2_IJNSI_INS2_IJSO_SQ_SQ_NSR_INS2_IJiNSL_IiLi256EEEEEELb0EEENSR_INS2_IJiNSL_IiLi128EEEEEELb0EEEEEENS2_IJSW_SX_SY_S10_SZ_EEENS2_IJS12_S10_SZ_S13_NS8_IJLi7ELi8EEEEEEENS8_IJLi5ELi6ELi7ELi8EEEElEES1J_EEES1J_NS_31BlockToCTileMap_M00_N0_M01AdaptILi256ELi128ENSI_INS2_IJSO_SQ_SQ_EEENS2_IJSW_SX_SY_EEENS2_IJS12_S10_SZ_EEENS8_IJLi3ELi4EEEElEEiEELb0EEEvPKT0_PKT1_T2_PT3_T4_T5_T6_T7_T8_T9_T10_T11_, .Lfunc_end4-_ZN2ck35kernel_gemm_multiple_d_xdl_cshuffleINS_34GridwiseGemmMultipleD_xdl_cshuffleIDF16_DF16_DF16_ffNS_5TupleIJDF16_DF16_EEEDF16_NS_16tensor_operation12element_wise11PassThroughES6_NS5_14AddAddFastGeluELi1ELi256ELi256ELi128ELi32ELi8ELi8ELi16ELi16ELi8ELi2ENS_8SequenceIJLi4ELi64ELi1EEEENS8_IJLi1ELi0ELi2EEEESA_Li2ELi8ELi8ELb0ELi1ES9_SA_SA_Li2ELi8ELi8ELb0ELi1ELi1ELi1ENS8_IJLi1ELi32ELi1ELi8EEEELi4ELNS_13LoopSchedulerE0ELNS_15PipelineVersionE0EDF16_Lb0EEEDF16_DF16_NS2_IJPKDF16_SG_EEEDF16_S6_S6_S7_NS_16TensorDescriptorINS2_IJNS_5EmbedINS2_IJiiEEENS2_IJiNS_17integral_constantIiLi1EEEEEELb0EEENS_11PassThroughIiEESQ_NS_7UnMergeINS2_IJiNSL_IiLi8EEEEEELb0EEESQ_EEENS2_IJNS8_IJLi0EEEENS8_IJLi1EEEENS8_IJLi2EEEENS8_IJLi4EEEENS8_IJLi3EEEEEEENS2_IJNS8_IJLi1ELi2EEEES10_SZ_NS8_IJLi5ELi6EEEENS8_IJLi7EEEEEEENS8_IJLi5ELi7ELi6EEEElEES17_NS2_IJNSI_INS2_IJSO_SQ_SQ_NSR_INS2_IJiNSL_IiLi256EEEEEELb0EEENSR_INS2_IJiNSL_IiLi128EEEEEELb0EEEEEENS2_IJSW_SX_SY_S10_SZ_EEENS2_IJS12_S10_SZ_S13_NS8_IJLi7ELi8EEEEEEENS8_IJLi5ELi6ELi7ELi8EEEElEES1J_EEES1J_NS_31BlockToCTileMap_M00_N0_M01AdaptILi256ELi128ENSI_INS2_IJSO_SQ_SQ_EEENS2_IJSW_SX_SY_EEENS2_IJS12_S10_SZ_EEENS8_IJLi3ELi4EEEElEEiEELb0EEEvPKT0_PKT1_T2_PT3_T4_T5_T6_T7_T8_T9_T10_T11_
                                        ; -- End function
	.set _ZN2ck35kernel_gemm_multiple_d_xdl_cshuffleINS_34GridwiseGemmMultipleD_xdl_cshuffleIDF16_DF16_DF16_ffNS_5TupleIJDF16_DF16_EEEDF16_NS_16tensor_operation12element_wise11PassThroughES6_NS5_14AddAddFastGeluELi1ELi256ELi256ELi128ELi32ELi8ELi8ELi16ELi16ELi8ELi2ENS_8SequenceIJLi4ELi64ELi1EEEENS8_IJLi1ELi0ELi2EEEESA_Li2ELi8ELi8ELb0ELi1ES9_SA_SA_Li2ELi8ELi8ELb0ELi1ELi1ELi1ENS8_IJLi1ELi32ELi1ELi8EEEELi4ELNS_13LoopSchedulerE0ELNS_15PipelineVersionE0EDF16_Lb0EEEDF16_DF16_NS2_IJPKDF16_SG_EEEDF16_S6_S6_S7_NS_16TensorDescriptorINS2_IJNS_5EmbedINS2_IJiiEEENS2_IJiNS_17integral_constantIiLi1EEEEEELb0EEENS_11PassThroughIiEESQ_NS_7UnMergeINS2_IJiNSL_IiLi8EEEEEELb0EEESQ_EEENS2_IJNS8_IJLi0EEEENS8_IJLi1EEEENS8_IJLi2EEEENS8_IJLi4EEEENS8_IJLi3EEEEEEENS2_IJNS8_IJLi1ELi2EEEES10_SZ_NS8_IJLi5ELi6EEEENS8_IJLi7EEEEEEENS8_IJLi5ELi7ELi6EEEElEES17_NS2_IJNSI_INS2_IJSO_SQ_SQ_NSR_INS2_IJiNSL_IiLi256EEEEEELb0EEENSR_INS2_IJiNSL_IiLi128EEEEEELb0EEEEEENS2_IJSW_SX_SY_S10_SZ_EEENS2_IJS12_S10_SZ_S13_NS8_IJLi7ELi8EEEEEEENS8_IJLi5ELi6ELi7ELi8EEEElEES1J_EEES1J_NS_31BlockToCTileMap_M00_N0_M01AdaptILi256ELi128ENSI_INS2_IJSO_SQ_SQ_EEENS2_IJSW_SX_SY_EEENS2_IJS12_S10_SZ_EEENS8_IJLi3ELi4EEEElEEiEELb0EEEvPKT0_PKT1_T2_PT3_T4_T5_T6_T7_T8_T9_T10_T11_.num_vgpr, 0
	.set _ZN2ck35kernel_gemm_multiple_d_xdl_cshuffleINS_34GridwiseGemmMultipleD_xdl_cshuffleIDF16_DF16_DF16_ffNS_5TupleIJDF16_DF16_EEEDF16_NS_16tensor_operation12element_wise11PassThroughES6_NS5_14AddAddFastGeluELi1ELi256ELi256ELi128ELi32ELi8ELi8ELi16ELi16ELi8ELi2ENS_8SequenceIJLi4ELi64ELi1EEEENS8_IJLi1ELi0ELi2EEEESA_Li2ELi8ELi8ELb0ELi1ES9_SA_SA_Li2ELi8ELi8ELb0ELi1ELi1ELi1ENS8_IJLi1ELi32ELi1ELi8EEEELi4ELNS_13LoopSchedulerE0ELNS_15PipelineVersionE0EDF16_Lb0EEEDF16_DF16_NS2_IJPKDF16_SG_EEEDF16_S6_S6_S7_NS_16TensorDescriptorINS2_IJNS_5EmbedINS2_IJiiEEENS2_IJiNS_17integral_constantIiLi1EEEEEELb0EEENS_11PassThroughIiEESQ_NS_7UnMergeINS2_IJiNSL_IiLi8EEEEEELb0EEESQ_EEENS2_IJNS8_IJLi0EEEENS8_IJLi1EEEENS8_IJLi2EEEENS8_IJLi4EEEENS8_IJLi3EEEEEEENS2_IJNS8_IJLi1ELi2EEEES10_SZ_NS8_IJLi5ELi6EEEENS8_IJLi7EEEEEEENS8_IJLi5ELi7ELi6EEEElEES17_NS2_IJNSI_INS2_IJSO_SQ_SQ_NSR_INS2_IJiNSL_IiLi256EEEEEELb0EEENSR_INS2_IJiNSL_IiLi128EEEEEELb0EEEEEENS2_IJSW_SX_SY_S10_SZ_EEENS2_IJS12_S10_SZ_S13_NS8_IJLi7ELi8EEEEEEENS8_IJLi5ELi6ELi7ELi8EEEElEES1J_EEES1J_NS_31BlockToCTileMap_M00_N0_M01AdaptILi256ELi128ENSI_INS2_IJSO_SQ_SQ_EEENS2_IJSW_SX_SY_EEENS2_IJS12_S10_SZ_EEENS8_IJLi3ELi4EEEElEEiEELb0EEEvPKT0_PKT1_T2_PT3_T4_T5_T6_T7_T8_T9_T10_T11_.num_agpr, 0
	.set _ZN2ck35kernel_gemm_multiple_d_xdl_cshuffleINS_34GridwiseGemmMultipleD_xdl_cshuffleIDF16_DF16_DF16_ffNS_5TupleIJDF16_DF16_EEEDF16_NS_16tensor_operation12element_wise11PassThroughES6_NS5_14AddAddFastGeluELi1ELi256ELi256ELi128ELi32ELi8ELi8ELi16ELi16ELi8ELi2ENS_8SequenceIJLi4ELi64ELi1EEEENS8_IJLi1ELi0ELi2EEEESA_Li2ELi8ELi8ELb0ELi1ES9_SA_SA_Li2ELi8ELi8ELb0ELi1ELi1ELi1ENS8_IJLi1ELi32ELi1ELi8EEEELi4ELNS_13LoopSchedulerE0ELNS_15PipelineVersionE0EDF16_Lb0EEEDF16_DF16_NS2_IJPKDF16_SG_EEEDF16_S6_S6_S7_NS_16TensorDescriptorINS2_IJNS_5EmbedINS2_IJiiEEENS2_IJiNS_17integral_constantIiLi1EEEEEELb0EEENS_11PassThroughIiEESQ_NS_7UnMergeINS2_IJiNSL_IiLi8EEEEEELb0EEESQ_EEENS2_IJNS8_IJLi0EEEENS8_IJLi1EEEENS8_IJLi2EEEENS8_IJLi4EEEENS8_IJLi3EEEEEEENS2_IJNS8_IJLi1ELi2EEEES10_SZ_NS8_IJLi5ELi6EEEENS8_IJLi7EEEEEEENS8_IJLi5ELi7ELi6EEEElEES17_NS2_IJNSI_INS2_IJSO_SQ_SQ_NSR_INS2_IJiNSL_IiLi256EEEEEELb0EEENSR_INS2_IJiNSL_IiLi128EEEEEELb0EEEEEENS2_IJSW_SX_SY_S10_SZ_EEENS2_IJS12_S10_SZ_S13_NS8_IJLi7ELi8EEEEEEENS8_IJLi5ELi6ELi7ELi8EEEElEES1J_EEES1J_NS_31BlockToCTileMap_M00_N0_M01AdaptILi256ELi128ENSI_INS2_IJSO_SQ_SQ_EEENS2_IJSW_SX_SY_EEENS2_IJS12_S10_SZ_EEENS8_IJLi3ELi4EEEElEEiEELb0EEEvPKT0_PKT1_T2_PT3_T4_T5_T6_T7_T8_T9_T10_T11_.numbered_sgpr, 0
	.set _ZN2ck35kernel_gemm_multiple_d_xdl_cshuffleINS_34GridwiseGemmMultipleD_xdl_cshuffleIDF16_DF16_DF16_ffNS_5TupleIJDF16_DF16_EEEDF16_NS_16tensor_operation12element_wise11PassThroughES6_NS5_14AddAddFastGeluELi1ELi256ELi256ELi128ELi32ELi8ELi8ELi16ELi16ELi8ELi2ENS_8SequenceIJLi4ELi64ELi1EEEENS8_IJLi1ELi0ELi2EEEESA_Li2ELi8ELi8ELb0ELi1ES9_SA_SA_Li2ELi8ELi8ELb0ELi1ELi1ELi1ENS8_IJLi1ELi32ELi1ELi8EEEELi4ELNS_13LoopSchedulerE0ELNS_15PipelineVersionE0EDF16_Lb0EEEDF16_DF16_NS2_IJPKDF16_SG_EEEDF16_S6_S6_S7_NS_16TensorDescriptorINS2_IJNS_5EmbedINS2_IJiiEEENS2_IJiNS_17integral_constantIiLi1EEEEEELb0EEENS_11PassThroughIiEESQ_NS_7UnMergeINS2_IJiNSL_IiLi8EEEEEELb0EEESQ_EEENS2_IJNS8_IJLi0EEEENS8_IJLi1EEEENS8_IJLi2EEEENS8_IJLi4EEEENS8_IJLi3EEEEEEENS2_IJNS8_IJLi1ELi2EEEES10_SZ_NS8_IJLi5ELi6EEEENS8_IJLi7EEEEEEENS8_IJLi5ELi7ELi6EEEElEES17_NS2_IJNSI_INS2_IJSO_SQ_SQ_NSR_INS2_IJiNSL_IiLi256EEEEEELb0EEENSR_INS2_IJiNSL_IiLi128EEEEEELb0EEEEEENS2_IJSW_SX_SY_S10_SZ_EEENS2_IJS12_S10_SZ_S13_NS8_IJLi7ELi8EEEEEEENS8_IJLi5ELi6ELi7ELi8EEEElEES1J_EEES1J_NS_31BlockToCTileMap_M00_N0_M01AdaptILi256ELi128ENSI_INS2_IJSO_SQ_SQ_EEENS2_IJSW_SX_SY_EEENS2_IJS12_S10_SZ_EEENS8_IJLi3ELi4EEEElEEiEELb0EEEvPKT0_PKT1_T2_PT3_T4_T5_T6_T7_T8_T9_T10_T11_.num_named_barrier, 0
	.set _ZN2ck35kernel_gemm_multiple_d_xdl_cshuffleINS_34GridwiseGemmMultipleD_xdl_cshuffleIDF16_DF16_DF16_ffNS_5TupleIJDF16_DF16_EEEDF16_NS_16tensor_operation12element_wise11PassThroughES6_NS5_14AddAddFastGeluELi1ELi256ELi256ELi128ELi32ELi8ELi8ELi16ELi16ELi8ELi2ENS_8SequenceIJLi4ELi64ELi1EEEENS8_IJLi1ELi0ELi2EEEESA_Li2ELi8ELi8ELb0ELi1ES9_SA_SA_Li2ELi8ELi8ELb0ELi1ELi1ELi1ENS8_IJLi1ELi32ELi1ELi8EEEELi4ELNS_13LoopSchedulerE0ELNS_15PipelineVersionE0EDF16_Lb0EEEDF16_DF16_NS2_IJPKDF16_SG_EEEDF16_S6_S6_S7_NS_16TensorDescriptorINS2_IJNS_5EmbedINS2_IJiiEEENS2_IJiNS_17integral_constantIiLi1EEEEEELb0EEENS_11PassThroughIiEESQ_NS_7UnMergeINS2_IJiNSL_IiLi8EEEEEELb0EEESQ_EEENS2_IJNS8_IJLi0EEEENS8_IJLi1EEEENS8_IJLi2EEEENS8_IJLi4EEEENS8_IJLi3EEEEEEENS2_IJNS8_IJLi1ELi2EEEES10_SZ_NS8_IJLi5ELi6EEEENS8_IJLi7EEEEEEENS8_IJLi5ELi7ELi6EEEElEES17_NS2_IJNSI_INS2_IJSO_SQ_SQ_NSR_INS2_IJiNSL_IiLi256EEEEEELb0EEENSR_INS2_IJiNSL_IiLi128EEEEEELb0EEEEEENS2_IJSW_SX_SY_S10_SZ_EEENS2_IJS12_S10_SZ_S13_NS8_IJLi7ELi8EEEEEEENS8_IJLi5ELi6ELi7ELi8EEEElEES1J_EEES1J_NS_31BlockToCTileMap_M00_N0_M01AdaptILi256ELi128ENSI_INS2_IJSO_SQ_SQ_EEENS2_IJSW_SX_SY_EEENS2_IJS12_S10_SZ_EEENS8_IJLi3ELi4EEEElEEiEELb0EEEvPKT0_PKT1_T2_PT3_T4_T5_T6_T7_T8_T9_T10_T11_.private_seg_size, 0
	.set _ZN2ck35kernel_gemm_multiple_d_xdl_cshuffleINS_34GridwiseGemmMultipleD_xdl_cshuffleIDF16_DF16_DF16_ffNS_5TupleIJDF16_DF16_EEEDF16_NS_16tensor_operation12element_wise11PassThroughES6_NS5_14AddAddFastGeluELi1ELi256ELi256ELi128ELi32ELi8ELi8ELi16ELi16ELi8ELi2ENS_8SequenceIJLi4ELi64ELi1EEEENS8_IJLi1ELi0ELi2EEEESA_Li2ELi8ELi8ELb0ELi1ES9_SA_SA_Li2ELi8ELi8ELb0ELi1ELi1ELi1ENS8_IJLi1ELi32ELi1ELi8EEEELi4ELNS_13LoopSchedulerE0ELNS_15PipelineVersionE0EDF16_Lb0EEEDF16_DF16_NS2_IJPKDF16_SG_EEEDF16_S6_S6_S7_NS_16TensorDescriptorINS2_IJNS_5EmbedINS2_IJiiEEENS2_IJiNS_17integral_constantIiLi1EEEEEELb0EEENS_11PassThroughIiEESQ_NS_7UnMergeINS2_IJiNSL_IiLi8EEEEEELb0EEESQ_EEENS2_IJNS8_IJLi0EEEENS8_IJLi1EEEENS8_IJLi2EEEENS8_IJLi4EEEENS8_IJLi3EEEEEEENS2_IJNS8_IJLi1ELi2EEEES10_SZ_NS8_IJLi5ELi6EEEENS8_IJLi7EEEEEEENS8_IJLi5ELi7ELi6EEEElEES17_NS2_IJNSI_INS2_IJSO_SQ_SQ_NSR_INS2_IJiNSL_IiLi256EEEEEELb0EEENSR_INS2_IJiNSL_IiLi128EEEEEELb0EEEEEENS2_IJSW_SX_SY_S10_SZ_EEENS2_IJS12_S10_SZ_S13_NS8_IJLi7ELi8EEEEEEENS8_IJLi5ELi6ELi7ELi8EEEElEES1J_EEES1J_NS_31BlockToCTileMap_M00_N0_M01AdaptILi256ELi128ENSI_INS2_IJSO_SQ_SQ_EEENS2_IJSW_SX_SY_EEENS2_IJS12_S10_SZ_EEENS8_IJLi3ELi4EEEElEEiEELb0EEEvPKT0_PKT1_T2_PT3_T4_T5_T6_T7_T8_T9_T10_T11_.uses_vcc, 0
	.set _ZN2ck35kernel_gemm_multiple_d_xdl_cshuffleINS_34GridwiseGemmMultipleD_xdl_cshuffleIDF16_DF16_DF16_ffNS_5TupleIJDF16_DF16_EEEDF16_NS_16tensor_operation12element_wise11PassThroughES6_NS5_14AddAddFastGeluELi1ELi256ELi256ELi128ELi32ELi8ELi8ELi16ELi16ELi8ELi2ENS_8SequenceIJLi4ELi64ELi1EEEENS8_IJLi1ELi0ELi2EEEESA_Li2ELi8ELi8ELb0ELi1ES9_SA_SA_Li2ELi8ELi8ELb0ELi1ELi1ELi1ENS8_IJLi1ELi32ELi1ELi8EEEELi4ELNS_13LoopSchedulerE0ELNS_15PipelineVersionE0EDF16_Lb0EEEDF16_DF16_NS2_IJPKDF16_SG_EEEDF16_S6_S6_S7_NS_16TensorDescriptorINS2_IJNS_5EmbedINS2_IJiiEEENS2_IJiNS_17integral_constantIiLi1EEEEEELb0EEENS_11PassThroughIiEESQ_NS_7UnMergeINS2_IJiNSL_IiLi8EEEEEELb0EEESQ_EEENS2_IJNS8_IJLi0EEEENS8_IJLi1EEEENS8_IJLi2EEEENS8_IJLi4EEEENS8_IJLi3EEEEEEENS2_IJNS8_IJLi1ELi2EEEES10_SZ_NS8_IJLi5ELi6EEEENS8_IJLi7EEEEEEENS8_IJLi5ELi7ELi6EEEElEES17_NS2_IJNSI_INS2_IJSO_SQ_SQ_NSR_INS2_IJiNSL_IiLi256EEEEEELb0EEENSR_INS2_IJiNSL_IiLi128EEEEEELb0EEEEEENS2_IJSW_SX_SY_S10_SZ_EEENS2_IJS12_S10_SZ_S13_NS8_IJLi7ELi8EEEEEEENS8_IJLi5ELi6ELi7ELi8EEEElEES1J_EEES1J_NS_31BlockToCTileMap_M00_N0_M01AdaptILi256ELi128ENSI_INS2_IJSO_SQ_SQ_EEENS2_IJSW_SX_SY_EEENS2_IJS12_S10_SZ_EEENS8_IJLi3ELi4EEEElEEiEELb0EEEvPKT0_PKT1_T2_PT3_T4_T5_T6_T7_T8_T9_T10_T11_.uses_flat_scratch, 0
	.set _ZN2ck35kernel_gemm_multiple_d_xdl_cshuffleINS_34GridwiseGemmMultipleD_xdl_cshuffleIDF16_DF16_DF16_ffNS_5TupleIJDF16_DF16_EEEDF16_NS_16tensor_operation12element_wise11PassThroughES6_NS5_14AddAddFastGeluELi1ELi256ELi256ELi128ELi32ELi8ELi8ELi16ELi16ELi8ELi2ENS_8SequenceIJLi4ELi64ELi1EEEENS8_IJLi1ELi0ELi2EEEESA_Li2ELi8ELi8ELb0ELi1ES9_SA_SA_Li2ELi8ELi8ELb0ELi1ELi1ELi1ENS8_IJLi1ELi32ELi1ELi8EEEELi4ELNS_13LoopSchedulerE0ELNS_15PipelineVersionE0EDF16_Lb0EEEDF16_DF16_NS2_IJPKDF16_SG_EEEDF16_S6_S6_S7_NS_16TensorDescriptorINS2_IJNS_5EmbedINS2_IJiiEEENS2_IJiNS_17integral_constantIiLi1EEEEEELb0EEENS_11PassThroughIiEESQ_NS_7UnMergeINS2_IJiNSL_IiLi8EEEEEELb0EEESQ_EEENS2_IJNS8_IJLi0EEEENS8_IJLi1EEEENS8_IJLi2EEEENS8_IJLi4EEEENS8_IJLi3EEEEEEENS2_IJNS8_IJLi1ELi2EEEES10_SZ_NS8_IJLi5ELi6EEEENS8_IJLi7EEEEEEENS8_IJLi5ELi7ELi6EEEElEES17_NS2_IJNSI_INS2_IJSO_SQ_SQ_NSR_INS2_IJiNSL_IiLi256EEEEEELb0EEENSR_INS2_IJiNSL_IiLi128EEEEEELb0EEEEEENS2_IJSW_SX_SY_S10_SZ_EEENS2_IJS12_S10_SZ_S13_NS8_IJLi7ELi8EEEEEEENS8_IJLi5ELi6ELi7ELi8EEEElEES1J_EEES1J_NS_31BlockToCTileMap_M00_N0_M01AdaptILi256ELi128ENSI_INS2_IJSO_SQ_SQ_EEENS2_IJSW_SX_SY_EEENS2_IJS12_S10_SZ_EEENS8_IJLi3ELi4EEEElEEiEELb0EEEvPKT0_PKT1_T2_PT3_T4_T5_T6_T7_T8_T9_T10_T11_.has_dyn_sized_stack, 0
	.set _ZN2ck35kernel_gemm_multiple_d_xdl_cshuffleINS_34GridwiseGemmMultipleD_xdl_cshuffleIDF16_DF16_DF16_ffNS_5TupleIJDF16_DF16_EEEDF16_NS_16tensor_operation12element_wise11PassThroughES6_NS5_14AddAddFastGeluELi1ELi256ELi256ELi128ELi32ELi8ELi8ELi16ELi16ELi8ELi2ENS_8SequenceIJLi4ELi64ELi1EEEENS8_IJLi1ELi0ELi2EEEESA_Li2ELi8ELi8ELb0ELi1ES9_SA_SA_Li2ELi8ELi8ELb0ELi1ELi1ELi1ENS8_IJLi1ELi32ELi1ELi8EEEELi4ELNS_13LoopSchedulerE0ELNS_15PipelineVersionE0EDF16_Lb0EEEDF16_DF16_NS2_IJPKDF16_SG_EEEDF16_S6_S6_S7_NS_16TensorDescriptorINS2_IJNS_5EmbedINS2_IJiiEEENS2_IJiNS_17integral_constantIiLi1EEEEEELb0EEENS_11PassThroughIiEESQ_NS_7UnMergeINS2_IJiNSL_IiLi8EEEEEELb0EEESQ_EEENS2_IJNS8_IJLi0EEEENS8_IJLi1EEEENS8_IJLi2EEEENS8_IJLi4EEEENS8_IJLi3EEEEEEENS2_IJNS8_IJLi1ELi2EEEES10_SZ_NS8_IJLi5ELi6EEEENS8_IJLi7EEEEEEENS8_IJLi5ELi7ELi6EEEElEES17_NS2_IJNSI_INS2_IJSO_SQ_SQ_NSR_INS2_IJiNSL_IiLi256EEEEEELb0EEENSR_INS2_IJiNSL_IiLi128EEEEEELb0EEEEEENS2_IJSW_SX_SY_S10_SZ_EEENS2_IJS12_S10_SZ_S13_NS8_IJLi7ELi8EEEEEEENS8_IJLi5ELi6ELi7ELi8EEEElEES1J_EEES1J_NS_31BlockToCTileMap_M00_N0_M01AdaptILi256ELi128ENSI_INS2_IJSO_SQ_SQ_EEENS2_IJSW_SX_SY_EEENS2_IJS12_S10_SZ_EEENS8_IJLi3ELi4EEEElEEiEELb0EEEvPKT0_PKT1_T2_PT3_T4_T5_T6_T7_T8_T9_T10_T11_.has_recursion, 0
	.set _ZN2ck35kernel_gemm_multiple_d_xdl_cshuffleINS_34GridwiseGemmMultipleD_xdl_cshuffleIDF16_DF16_DF16_ffNS_5TupleIJDF16_DF16_EEEDF16_NS_16tensor_operation12element_wise11PassThroughES6_NS5_14AddAddFastGeluELi1ELi256ELi256ELi128ELi32ELi8ELi8ELi16ELi16ELi8ELi2ENS_8SequenceIJLi4ELi64ELi1EEEENS8_IJLi1ELi0ELi2EEEESA_Li2ELi8ELi8ELb0ELi1ES9_SA_SA_Li2ELi8ELi8ELb0ELi1ELi1ELi1ENS8_IJLi1ELi32ELi1ELi8EEEELi4ELNS_13LoopSchedulerE0ELNS_15PipelineVersionE0EDF16_Lb0EEEDF16_DF16_NS2_IJPKDF16_SG_EEEDF16_S6_S6_S7_NS_16TensorDescriptorINS2_IJNS_5EmbedINS2_IJiiEEENS2_IJiNS_17integral_constantIiLi1EEEEEELb0EEENS_11PassThroughIiEESQ_NS_7UnMergeINS2_IJiNSL_IiLi8EEEEEELb0EEESQ_EEENS2_IJNS8_IJLi0EEEENS8_IJLi1EEEENS8_IJLi2EEEENS8_IJLi4EEEENS8_IJLi3EEEEEEENS2_IJNS8_IJLi1ELi2EEEES10_SZ_NS8_IJLi5ELi6EEEENS8_IJLi7EEEEEEENS8_IJLi5ELi7ELi6EEEElEES17_NS2_IJNSI_INS2_IJSO_SQ_SQ_NSR_INS2_IJiNSL_IiLi256EEEEEELb0EEENSR_INS2_IJiNSL_IiLi128EEEEEELb0EEEEEENS2_IJSW_SX_SY_S10_SZ_EEENS2_IJS12_S10_SZ_S13_NS8_IJLi7ELi8EEEEEEENS8_IJLi5ELi6ELi7ELi8EEEElEES1J_EEES1J_NS_31BlockToCTileMap_M00_N0_M01AdaptILi256ELi128ENSI_INS2_IJSO_SQ_SQ_EEENS2_IJSW_SX_SY_EEENS2_IJS12_S10_SZ_EEENS8_IJLi3ELi4EEEElEEiEELb0EEEvPKT0_PKT1_T2_PT3_T4_T5_T6_T7_T8_T9_T10_T11_.has_indirect_call, 0
	.section	.AMDGPU.csdata,"",@progbits
; Kernel info:
; codeLenInByte = 4
; TotalNumSgprs: 6
; NumVgprs: 0
; NumAgprs: 0
; TotalNumVgprs: 0
; ScratchSize: 0
; MemoryBound: 0
; FloatMode: 240
; IeeeMode: 1
; LDSByteSize: 0 bytes/workgroup (compile time only)
; SGPRBlocks: 0
; VGPRBlocks: 0
; NumSGPRsForWavesPerEU: 6
; NumVGPRsForWavesPerEU: 1
; AccumOffset: 4
; Occupancy: 8
; WaveLimiterHint : 0
; COMPUTE_PGM_RSRC2:SCRATCH_EN: 0
; COMPUTE_PGM_RSRC2:USER_SGPR: 2
; COMPUTE_PGM_RSRC2:TRAP_HANDLER: 0
; COMPUTE_PGM_RSRC2:TGID_X_EN: 1
; COMPUTE_PGM_RSRC2:TGID_Y_EN: 0
; COMPUTE_PGM_RSRC2:TGID_Z_EN: 0
; COMPUTE_PGM_RSRC2:TIDIG_COMP_CNT: 0
; COMPUTE_PGM_RSRC3_GFX90A:ACCUM_OFFSET: 0
; COMPUTE_PGM_RSRC3_GFX90A:TG_SPLIT: 0
	.section	.AMDGPU.gpr_maximums,"",@progbits
	.set amdgpu.max_num_vgpr, 0
	.set amdgpu.max_num_agpr, 0
	.set amdgpu.max_num_sgpr, 0
	.section	.AMDGPU.csdata,"",@progbits
	.type	__hip_cuid_1bd85c9ca3d9653e,@object ; @__hip_cuid_1bd85c9ca3d9653e
	.section	.bss,"aw",@nobits
	.globl	__hip_cuid_1bd85c9ca3d9653e
__hip_cuid_1bd85c9ca3d9653e:
	.byte	0                               ; 0x0
	.size	__hip_cuid_1bd85c9ca3d9653e, 1

	.ident	"AMD clang version 22.0.0git (https://github.com/RadeonOpenCompute/llvm-project roc-7.2.4 26084 f58b06dce1f9c15707c5f808fd002e18c2accf7e)"
	.section	".note.GNU-stack","",@progbits
	.addrsig
	.addrsig_sym __hip_cuid_1bd85c9ca3d9653e
	.amdgpu_metadata
---
amdhsa.kernels:
  - .agpr_count:     0
    .args:           []
    .group_segment_fixed_size: 0
    .kernarg_segment_align: 4
    .kernarg_segment_size: 0
    .language:       OpenCL C
    .language_version:
      - 2
      - 0
    .max_flat_workgroup_size: 1024
    .name:           _ZN2ckL12flush_icacheEv
    .private_segment_fixed_size: 0
    .sgpr_count:     6
    .sgpr_spill_count: 0
    .symbol:         _ZN2ckL12flush_icacheEv.kd
    .uniform_work_group_size: 1
    .uses_dynamic_stack: false
    .vgpr_count:     0
    .vgpr_spill_count: 0
    .wavefront_size: 64
  - .agpr_count:     0
    .args:
      - .actual_access:  read_only
        .address_space:  global
        .offset:         0
        .size:           8
        .value_kind:     global_buffer
      - .actual_access:  read_only
        .address_space:  global
        .offset:         8
        .size:           8
        .value_kind:     global_buffer
      - .offset:         16
        .size:           16
        .value_kind:     by_value
      - .actual_access:  write_only
        .address_space:  global
        .offset:         32
        .size:           8
        .value_kind:     global_buffer
      - .offset:         40
        .size:           1
        .value_kind:     by_value
      - .offset:         41
        .size:           1
        .value_kind:     by_value
      - .offset:         42
        .size:           1
        .value_kind:     by_value
      - .offset:         48
        .size:           56
        .value_kind:     by_value
      - .offset:         104
        .size:           56
        .value_kind:     by_value
      - .offset:         160
        .size:           128
        .value_kind:     by_value
      - .offset:         288
        .size:           64
        .value_kind:     by_value
      - .offset:         352
        .size:           12
        .value_kind:     by_value
    .group_segment_fixed_size: 24672
    .kernarg_segment_align: 8
    .kernarg_segment_size: 364
    .language:       OpenCL C
    .language_version:
      - 2
      - 0
    .max_flat_workgroup_size: 256
    .name:           _ZN2ck35kernel_gemm_multiple_d_xdl_cshuffleINS_34GridwiseGemmMultipleD_xdl_cshuffleIDF16_DF16_DF16_ffNS_5TupleIJDF16_DF16_EEEDF16_NS_16tensor_operation12element_wise11PassThroughES6_NS5_14AddAddFastGeluELi1ELi256ELi256ELi128ELi32ELi8ELi8ELi16ELi16ELi8ELi4ENS_8SequenceIJLi4ELi64ELi1EEEENS8_IJLi1ELi0ELi2EEEESA_Li2ELi8ELi8ELb0ELi1ES9_SA_SA_Li2ELi8ELi8ELb0ELi1ELi1ELi1ENS8_IJLi1ELi32ELi1ELi8EEEELi4ELNS_13LoopSchedulerE0ELNS_15PipelineVersionE0EDF16_Lb0EEEDF16_DF16_NS2_IJPKDF16_SG_EEEDF16_S6_S6_S7_NS_16TensorDescriptorINS2_IJNS_5EmbedINS2_IJiiEEENS2_IJiNS_17integral_constantIiLi1EEEEEELb0EEENS_11PassThroughIiEESQ_NS_7UnMergeINS2_IJiNSL_IiLi8EEEEEELb0EEESQ_EEENS2_IJNS8_IJLi0EEEENS8_IJLi1EEEENS8_IJLi2EEEENS8_IJLi4EEEENS8_IJLi3EEEEEEENS2_IJNS8_IJLi1ELi2EEEES10_SZ_NS8_IJLi5ELi6EEEENS8_IJLi7EEEEEEENS8_IJLi5ELi7ELi6EEEElEES17_NS2_IJNSI_INS2_IJSO_SQ_SQ_NSR_INS2_IJiNSL_IiLi256EEEEEELb0EEENSR_INS2_IJiNSL_IiLi128EEEEEELb0EEEEEENS2_IJSW_SX_SY_S10_SZ_EEENS2_IJS12_S10_SZ_S13_NS8_IJLi7ELi8EEEEEEENS8_IJLi5ELi6ELi7ELi8EEEElEES1J_EEES1J_NS_31BlockToCTileMap_M00_N0_M01AdaptILi256ELi128ENSI_INS2_IJSO_SQ_SQ_EEENS2_IJSW_SX_SY_EEENS2_IJS12_S10_SZ_EEENS8_IJLi3ELi4EEEElEEiEELb1EEEvPKT0_PKT1_T2_PT3_T4_T5_T6_T7_T8_T9_T10_T11_
    .private_segment_fixed_size: 0
    .sgpr_count:     40
    .sgpr_spill_count: 0
    .symbol:         _ZN2ck35kernel_gemm_multiple_d_xdl_cshuffleINS_34GridwiseGemmMultipleD_xdl_cshuffleIDF16_DF16_DF16_ffNS_5TupleIJDF16_DF16_EEEDF16_NS_16tensor_operation12element_wise11PassThroughES6_NS5_14AddAddFastGeluELi1ELi256ELi256ELi128ELi32ELi8ELi8ELi16ELi16ELi8ELi4ENS_8SequenceIJLi4ELi64ELi1EEEENS8_IJLi1ELi0ELi2EEEESA_Li2ELi8ELi8ELb0ELi1ES9_SA_SA_Li2ELi8ELi8ELb0ELi1ELi1ELi1ENS8_IJLi1ELi32ELi1ELi8EEEELi4ELNS_13LoopSchedulerE0ELNS_15PipelineVersionE0EDF16_Lb0EEEDF16_DF16_NS2_IJPKDF16_SG_EEEDF16_S6_S6_S7_NS_16TensorDescriptorINS2_IJNS_5EmbedINS2_IJiiEEENS2_IJiNS_17integral_constantIiLi1EEEEEELb0EEENS_11PassThroughIiEESQ_NS_7UnMergeINS2_IJiNSL_IiLi8EEEEEELb0EEESQ_EEENS2_IJNS8_IJLi0EEEENS8_IJLi1EEEENS8_IJLi2EEEENS8_IJLi4EEEENS8_IJLi3EEEEEEENS2_IJNS8_IJLi1ELi2EEEES10_SZ_NS8_IJLi5ELi6EEEENS8_IJLi7EEEEEEENS8_IJLi5ELi7ELi6EEEElEES17_NS2_IJNSI_INS2_IJSO_SQ_SQ_NSR_INS2_IJiNSL_IiLi256EEEEEELb0EEENSR_INS2_IJiNSL_IiLi128EEEEEELb0EEEEEENS2_IJSW_SX_SY_S10_SZ_EEENS2_IJS12_S10_SZ_S13_NS8_IJLi7ELi8EEEEEEENS8_IJLi5ELi6ELi7ELi8EEEElEES1J_EEES1J_NS_31BlockToCTileMap_M00_N0_M01AdaptILi256ELi128ENSI_INS2_IJSO_SQ_SQ_EEENS2_IJSW_SX_SY_EEENS2_IJS12_S10_SZ_EEENS8_IJLi3ELi4EEEElEEiEELb1EEEvPKT0_PKT1_T2_PT3_T4_T5_T6_T7_T8_T9_T10_T11_.kd
    .uniform_work_group_size: 1
    .uses_dynamic_stack: false
    .vgpr_count:     195
    .vgpr_spill_count: 0
    .wavefront_size: 64
  - .agpr_count:     0
    .args:
      - .actual_access:  read_only
        .address_space:  global
        .offset:         0
        .size:           8
        .value_kind:     global_buffer
      - .actual_access:  read_only
        .address_space:  global
        .offset:         8
        .size:           8
        .value_kind:     global_buffer
      - .offset:         16
        .size:           16
        .value_kind:     by_value
      - .actual_access:  write_only
        .address_space:  global
        .offset:         32
        .size:           8
        .value_kind:     global_buffer
      - .offset:         40
        .size:           1
        .value_kind:     by_value
      - .offset:         41
        .size:           1
        .value_kind:     by_value
      - .offset:         42
        .size:           1
        .value_kind:     by_value
      - .offset:         48
        .size:           56
        .value_kind:     by_value
      - .offset:         104
        .size:           56
        .value_kind:     by_value
      - .offset:         160
        .size:           128
        .value_kind:     by_value
      - .offset:         288
        .size:           64
        .value_kind:     by_value
      - .offset:         352
        .size:           12
        .value_kind:     by_value
    .group_segment_fixed_size: 24672
    .kernarg_segment_align: 8
    .kernarg_segment_size: 364
    .language:       OpenCL C
    .language_version:
      - 2
      - 0
    .max_flat_workgroup_size: 256
    .name:           _ZN2ck35kernel_gemm_multiple_d_xdl_cshuffleINS_34GridwiseGemmMultipleD_xdl_cshuffleIDF16_DF16_DF16_ffNS_5TupleIJDF16_DF16_EEEDF16_NS_16tensor_operation12element_wise11PassThroughES6_NS5_14AddAddFastGeluELi1ELi256ELi256ELi128ELi32ELi8ELi8ELi16ELi16ELi8ELi4ENS_8SequenceIJLi4ELi64ELi1EEEENS8_IJLi1ELi0ELi2EEEESA_Li2ELi8ELi8ELb0ELi1ES9_SA_SA_Li2ELi8ELi8ELb0ELi1ELi1ELi1ENS8_IJLi1ELi32ELi1ELi8EEEELi4ELNS_13LoopSchedulerE0ELNS_15PipelineVersionE0EDF16_Lb0EEEDF16_DF16_NS2_IJPKDF16_SG_EEEDF16_S6_S6_S7_NS_16TensorDescriptorINS2_IJNS_5EmbedINS2_IJiiEEENS2_IJiNS_17integral_constantIiLi1EEEEEELb0EEENS_11PassThroughIiEESQ_NS_7UnMergeINS2_IJiNSL_IiLi8EEEEEELb0EEESQ_EEENS2_IJNS8_IJLi0EEEENS8_IJLi1EEEENS8_IJLi2EEEENS8_IJLi4EEEENS8_IJLi3EEEEEEENS2_IJNS8_IJLi1ELi2EEEES10_SZ_NS8_IJLi5ELi6EEEENS8_IJLi7EEEEEEENS8_IJLi5ELi7ELi6EEEElEES17_NS2_IJNSI_INS2_IJSO_SQ_SQ_NSR_INS2_IJiNSL_IiLi256EEEEEELb0EEENSR_INS2_IJiNSL_IiLi128EEEEEELb0EEEEEENS2_IJSW_SX_SY_S10_SZ_EEENS2_IJS12_S10_SZ_S13_NS8_IJLi7ELi8EEEEEEENS8_IJLi5ELi6ELi7ELi8EEEElEES1J_EEES1J_NS_31BlockToCTileMap_M00_N0_M01AdaptILi256ELi128ENSI_INS2_IJSO_SQ_SQ_EEENS2_IJSW_SX_SY_EEENS2_IJS12_S10_SZ_EEENS8_IJLi3ELi4EEEElEEiEELb0EEEvPKT0_PKT1_T2_PT3_T4_T5_T6_T7_T8_T9_T10_T11_
    .private_segment_fixed_size: 0
    .sgpr_count:     33
    .sgpr_spill_count: 0
    .symbol:         _ZN2ck35kernel_gemm_multiple_d_xdl_cshuffleINS_34GridwiseGemmMultipleD_xdl_cshuffleIDF16_DF16_DF16_ffNS_5TupleIJDF16_DF16_EEEDF16_NS_16tensor_operation12element_wise11PassThroughES6_NS5_14AddAddFastGeluELi1ELi256ELi256ELi128ELi32ELi8ELi8ELi16ELi16ELi8ELi4ENS_8SequenceIJLi4ELi64ELi1EEEENS8_IJLi1ELi0ELi2EEEESA_Li2ELi8ELi8ELb0ELi1ES9_SA_SA_Li2ELi8ELi8ELb0ELi1ELi1ELi1ENS8_IJLi1ELi32ELi1ELi8EEEELi4ELNS_13LoopSchedulerE0ELNS_15PipelineVersionE0EDF16_Lb0EEEDF16_DF16_NS2_IJPKDF16_SG_EEEDF16_S6_S6_S7_NS_16TensorDescriptorINS2_IJNS_5EmbedINS2_IJiiEEENS2_IJiNS_17integral_constantIiLi1EEEEEELb0EEENS_11PassThroughIiEESQ_NS_7UnMergeINS2_IJiNSL_IiLi8EEEEEELb0EEESQ_EEENS2_IJNS8_IJLi0EEEENS8_IJLi1EEEENS8_IJLi2EEEENS8_IJLi4EEEENS8_IJLi3EEEEEEENS2_IJNS8_IJLi1ELi2EEEES10_SZ_NS8_IJLi5ELi6EEEENS8_IJLi7EEEEEEENS8_IJLi5ELi7ELi6EEEElEES17_NS2_IJNSI_INS2_IJSO_SQ_SQ_NSR_INS2_IJiNSL_IiLi256EEEEEELb0EEENSR_INS2_IJiNSL_IiLi128EEEEEELb0EEEEEENS2_IJSW_SX_SY_S10_SZ_EEENS2_IJS12_S10_SZ_S13_NS8_IJLi7ELi8EEEEEEENS8_IJLi5ELi6ELi7ELi8EEEElEES1J_EEES1J_NS_31BlockToCTileMap_M00_N0_M01AdaptILi256ELi128ENSI_INS2_IJSO_SQ_SQ_EEENS2_IJSW_SX_SY_EEENS2_IJS12_S10_SZ_EEENS8_IJLi3ELi4EEEElEEiEELb0EEEvPKT0_PKT1_T2_PT3_T4_T5_T6_T7_T8_T9_T10_T11_.kd
    .uniform_work_group_size: 1
    .uses_dynamic_stack: false
    .vgpr_count:     75
    .vgpr_spill_count: 0
    .wavefront_size: 64
  - .agpr_count:     0
    .args:
      - .actual_access:  read_only
        .address_space:  global
        .offset:         0
        .size:           8
        .value_kind:     global_buffer
      - .actual_access:  read_only
        .address_space:  global
        .offset:         8
        .size:           8
        .value_kind:     global_buffer
      - .offset:         16
        .size:           16
        .value_kind:     by_value
      - .actual_access:  read_only
        .address_space:  global
        .offset:         32
        .size:           8
        .value_kind:     global_buffer
      - .offset:         40
        .size:           1
        .value_kind:     by_value
      - .offset:         41
        .size:           1
        .value_kind:     by_value
      - .offset:         42
        .size:           1
        .value_kind:     by_value
      - .offset:         48
        .size:           56
        .value_kind:     by_value
      - .offset:         104
        .size:           56
        .value_kind:     by_value
      - .offset:         160
        .size:           128
        .value_kind:     by_value
      - .offset:         288
        .size:           64
        .value_kind:     by_value
      - .offset:         352
        .size:           12
        .value_kind:     by_value
    .group_segment_fixed_size: 0
    .kernarg_segment_align: 8
    .kernarg_segment_size: 364
    .language:       OpenCL C
    .language_version:
      - 2
      - 0
    .max_flat_workgroup_size: 256
    .name:           _ZN2ck35kernel_gemm_multiple_d_xdl_cshuffleINS_34GridwiseGemmMultipleD_xdl_cshuffleIDF16_DF16_DF16_ffNS_5TupleIJDF16_DF16_EEEDF16_NS_16tensor_operation12element_wise11PassThroughES6_NS5_14AddAddFastGeluELi1ELi256ELi256ELi128ELi32ELi8ELi8ELi16ELi16ELi8ELi2ENS_8SequenceIJLi4ELi64ELi1EEEENS8_IJLi1ELi0ELi2EEEESA_Li2ELi8ELi8ELb0ELi1ES9_SA_SA_Li2ELi8ELi8ELb0ELi1ELi1ELi1ENS8_IJLi1ELi32ELi1ELi8EEEELi4ELNS_13LoopSchedulerE0ELNS_15PipelineVersionE0EDF16_Lb0EEEDF16_DF16_NS2_IJPKDF16_SG_EEEDF16_S6_S6_S7_NS_16TensorDescriptorINS2_IJNS_5EmbedINS2_IJiiEEENS2_IJiNS_17integral_constantIiLi1EEEEEELb0EEENS_11PassThroughIiEESQ_NS_7UnMergeINS2_IJiNSL_IiLi8EEEEEELb0EEESQ_EEENS2_IJNS8_IJLi0EEEENS8_IJLi1EEEENS8_IJLi2EEEENS8_IJLi4EEEENS8_IJLi3EEEEEEENS2_IJNS8_IJLi1ELi2EEEES10_SZ_NS8_IJLi5ELi6EEEENS8_IJLi7EEEEEEENS8_IJLi5ELi7ELi6EEEElEES17_NS2_IJNSI_INS2_IJSO_SQ_SQ_NSR_INS2_IJiNSL_IiLi256EEEEEELb0EEENSR_INS2_IJiNSL_IiLi128EEEEEELb0EEEEEENS2_IJSW_SX_SY_S10_SZ_EEENS2_IJS12_S10_SZ_S13_NS8_IJLi7ELi8EEEEEEENS8_IJLi5ELi6ELi7ELi8EEEElEES1J_EEES1J_NS_31BlockToCTileMap_M00_N0_M01AdaptILi256ELi128ENSI_INS2_IJSO_SQ_SQ_EEENS2_IJSW_SX_SY_EEENS2_IJS12_S10_SZ_EEENS8_IJLi3ELi4EEEElEEiEELb1EEEvPKT0_PKT1_T2_PT3_T4_T5_T6_T7_T8_T9_T10_T11_
    .private_segment_fixed_size: 0
    .sgpr_count:     6
    .sgpr_spill_count: 0
    .symbol:         _ZN2ck35kernel_gemm_multiple_d_xdl_cshuffleINS_34GridwiseGemmMultipleD_xdl_cshuffleIDF16_DF16_DF16_ffNS_5TupleIJDF16_DF16_EEEDF16_NS_16tensor_operation12element_wise11PassThroughES6_NS5_14AddAddFastGeluELi1ELi256ELi256ELi128ELi32ELi8ELi8ELi16ELi16ELi8ELi2ENS_8SequenceIJLi4ELi64ELi1EEEENS8_IJLi1ELi0ELi2EEEESA_Li2ELi8ELi8ELb0ELi1ES9_SA_SA_Li2ELi8ELi8ELb0ELi1ELi1ELi1ENS8_IJLi1ELi32ELi1ELi8EEEELi4ELNS_13LoopSchedulerE0ELNS_15PipelineVersionE0EDF16_Lb0EEEDF16_DF16_NS2_IJPKDF16_SG_EEEDF16_S6_S6_S7_NS_16TensorDescriptorINS2_IJNS_5EmbedINS2_IJiiEEENS2_IJiNS_17integral_constantIiLi1EEEEEELb0EEENS_11PassThroughIiEESQ_NS_7UnMergeINS2_IJiNSL_IiLi8EEEEEELb0EEESQ_EEENS2_IJNS8_IJLi0EEEENS8_IJLi1EEEENS8_IJLi2EEEENS8_IJLi4EEEENS8_IJLi3EEEEEEENS2_IJNS8_IJLi1ELi2EEEES10_SZ_NS8_IJLi5ELi6EEEENS8_IJLi7EEEEEEENS8_IJLi5ELi7ELi6EEEElEES17_NS2_IJNSI_INS2_IJSO_SQ_SQ_NSR_INS2_IJiNSL_IiLi256EEEEEELb0EEENSR_INS2_IJiNSL_IiLi128EEEEEELb0EEEEEENS2_IJSW_SX_SY_S10_SZ_EEENS2_IJS12_S10_SZ_S13_NS8_IJLi7ELi8EEEEEEENS8_IJLi5ELi6ELi7ELi8EEEElEES1J_EEES1J_NS_31BlockToCTileMap_M00_N0_M01AdaptILi256ELi128ENSI_INS2_IJSO_SQ_SQ_EEENS2_IJSW_SX_SY_EEENS2_IJS12_S10_SZ_EEENS8_IJLi3ELi4EEEElEEiEELb1EEEvPKT0_PKT1_T2_PT3_T4_T5_T6_T7_T8_T9_T10_T11_.kd
    .uniform_work_group_size: 1
    .uses_dynamic_stack: false
    .vgpr_count:     0
    .vgpr_spill_count: 0
    .wavefront_size: 64
  - .agpr_count:     0
    .args:
      - .actual_access:  read_only
        .address_space:  global
        .offset:         0
        .size:           8
        .value_kind:     global_buffer
      - .actual_access:  read_only
        .address_space:  global
        .offset:         8
        .size:           8
        .value_kind:     global_buffer
      - .offset:         16
        .size:           16
        .value_kind:     by_value
      - .actual_access:  read_only
        .address_space:  global
        .offset:         32
        .size:           8
        .value_kind:     global_buffer
      - .offset:         40
        .size:           1
        .value_kind:     by_value
      - .offset:         41
        .size:           1
        .value_kind:     by_value
      - .offset:         42
        .size:           1
        .value_kind:     by_value
      - .offset:         48
        .size:           56
        .value_kind:     by_value
      - .offset:         104
        .size:           56
        .value_kind:     by_value
      - .offset:         160
        .size:           128
        .value_kind:     by_value
      - .offset:         288
        .size:           64
        .value_kind:     by_value
      - .offset:         352
        .size:           12
        .value_kind:     by_value
    .group_segment_fixed_size: 0
    .kernarg_segment_align: 8
    .kernarg_segment_size: 364
    .language:       OpenCL C
    .language_version:
      - 2
      - 0
    .max_flat_workgroup_size: 256
    .name:           _ZN2ck35kernel_gemm_multiple_d_xdl_cshuffleINS_34GridwiseGemmMultipleD_xdl_cshuffleIDF16_DF16_DF16_ffNS_5TupleIJDF16_DF16_EEEDF16_NS_16tensor_operation12element_wise11PassThroughES6_NS5_14AddAddFastGeluELi1ELi256ELi256ELi128ELi32ELi8ELi8ELi16ELi16ELi8ELi2ENS_8SequenceIJLi4ELi64ELi1EEEENS8_IJLi1ELi0ELi2EEEESA_Li2ELi8ELi8ELb0ELi1ES9_SA_SA_Li2ELi8ELi8ELb0ELi1ELi1ELi1ENS8_IJLi1ELi32ELi1ELi8EEEELi4ELNS_13LoopSchedulerE0ELNS_15PipelineVersionE0EDF16_Lb0EEEDF16_DF16_NS2_IJPKDF16_SG_EEEDF16_S6_S6_S7_NS_16TensorDescriptorINS2_IJNS_5EmbedINS2_IJiiEEENS2_IJiNS_17integral_constantIiLi1EEEEEELb0EEENS_11PassThroughIiEESQ_NS_7UnMergeINS2_IJiNSL_IiLi8EEEEEELb0EEESQ_EEENS2_IJNS8_IJLi0EEEENS8_IJLi1EEEENS8_IJLi2EEEENS8_IJLi4EEEENS8_IJLi3EEEEEEENS2_IJNS8_IJLi1ELi2EEEES10_SZ_NS8_IJLi5ELi6EEEENS8_IJLi7EEEEEEENS8_IJLi5ELi7ELi6EEEElEES17_NS2_IJNSI_INS2_IJSO_SQ_SQ_NSR_INS2_IJiNSL_IiLi256EEEEEELb0EEENSR_INS2_IJiNSL_IiLi128EEEEEELb0EEEEEENS2_IJSW_SX_SY_S10_SZ_EEENS2_IJS12_S10_SZ_S13_NS8_IJLi7ELi8EEEEEEENS8_IJLi5ELi6ELi7ELi8EEEElEES1J_EEES1J_NS_31BlockToCTileMap_M00_N0_M01AdaptILi256ELi128ENSI_INS2_IJSO_SQ_SQ_EEENS2_IJSW_SX_SY_EEENS2_IJS12_S10_SZ_EEENS8_IJLi3ELi4EEEElEEiEELb0EEEvPKT0_PKT1_T2_PT3_T4_T5_T6_T7_T8_T9_T10_T11_
    .private_segment_fixed_size: 0
    .sgpr_count:     6
    .sgpr_spill_count: 0
    .symbol:         _ZN2ck35kernel_gemm_multiple_d_xdl_cshuffleINS_34GridwiseGemmMultipleD_xdl_cshuffleIDF16_DF16_DF16_ffNS_5TupleIJDF16_DF16_EEEDF16_NS_16tensor_operation12element_wise11PassThroughES6_NS5_14AddAddFastGeluELi1ELi256ELi256ELi128ELi32ELi8ELi8ELi16ELi16ELi8ELi2ENS_8SequenceIJLi4ELi64ELi1EEEENS8_IJLi1ELi0ELi2EEEESA_Li2ELi8ELi8ELb0ELi1ES9_SA_SA_Li2ELi8ELi8ELb0ELi1ELi1ELi1ENS8_IJLi1ELi32ELi1ELi8EEEELi4ELNS_13LoopSchedulerE0ELNS_15PipelineVersionE0EDF16_Lb0EEEDF16_DF16_NS2_IJPKDF16_SG_EEEDF16_S6_S6_S7_NS_16TensorDescriptorINS2_IJNS_5EmbedINS2_IJiiEEENS2_IJiNS_17integral_constantIiLi1EEEEEELb0EEENS_11PassThroughIiEESQ_NS_7UnMergeINS2_IJiNSL_IiLi8EEEEEELb0EEESQ_EEENS2_IJNS8_IJLi0EEEENS8_IJLi1EEEENS8_IJLi2EEEENS8_IJLi4EEEENS8_IJLi3EEEEEEENS2_IJNS8_IJLi1ELi2EEEES10_SZ_NS8_IJLi5ELi6EEEENS8_IJLi7EEEEEEENS8_IJLi5ELi7ELi6EEEElEES17_NS2_IJNSI_INS2_IJSO_SQ_SQ_NSR_INS2_IJiNSL_IiLi256EEEEEELb0EEENSR_INS2_IJiNSL_IiLi128EEEEEELb0EEEEEENS2_IJSW_SX_SY_S10_SZ_EEENS2_IJS12_S10_SZ_S13_NS8_IJLi7ELi8EEEEEEENS8_IJLi5ELi6ELi7ELi8EEEElEES1J_EEES1J_NS_31BlockToCTileMap_M00_N0_M01AdaptILi256ELi128ENSI_INS2_IJSO_SQ_SQ_EEENS2_IJSW_SX_SY_EEENS2_IJS12_S10_SZ_EEENS8_IJLi3ELi4EEEElEEiEELb0EEEvPKT0_PKT1_T2_PT3_T4_T5_T6_T7_T8_T9_T10_T11_.kd
    .uniform_work_group_size: 1
    .uses_dynamic_stack: false
    .vgpr_count:     0
    .vgpr_spill_count: 0
    .wavefront_size: 64
amdhsa.target:   amdgcn-amd-amdhsa--gfx950
amdhsa.version:
  - 1
  - 2
...

	.end_amdgpu_metadata
